;; amdgpu-corpus repo=zjin-lcf/HeCBench kind=compiled arch=gfx1201 opt=O3
	.amdgcn_target "amdgcn-amd-amdhsa--gfx1201"
	.amdhsa_code_object_version 6
	.section	.text._Z30fast_hadamard_transform_kernelI37fast_hadamard_transform_kernel_traitsILi1ELi3EfEEv18HadamardParamsBase,"axG",@progbits,_Z30fast_hadamard_transform_kernelI37fast_hadamard_transform_kernel_traitsILi1ELi3EfEEv18HadamardParamsBase,comdat
	.protected	_Z30fast_hadamard_transform_kernelI37fast_hadamard_transform_kernel_traitsILi1ELi3EfEEv18HadamardParamsBase ; -- Begin function _Z30fast_hadamard_transform_kernelI37fast_hadamard_transform_kernel_traitsILi1ELi3EfEEv18HadamardParamsBase
	.globl	_Z30fast_hadamard_transform_kernelI37fast_hadamard_transform_kernel_traitsILi1ELi3EfEEv18HadamardParamsBase
	.p2align	8
	.type	_Z30fast_hadamard_transform_kernelI37fast_hadamard_transform_kernel_traitsILi1ELi3EfEEv18HadamardParamsBase,@function
_Z30fast_hadamard_transform_kernelI37fast_hadamard_transform_kernel_traitsILi1ELi3EfEEv18HadamardParamsBase: ; @_Z30fast_hadamard_transform_kernelI37fast_hadamard_transform_kernel_traitsILi1ELi3EfEEv18HadamardParamsBase
; %bb.0:
	s_clause 0x3
	s_load_b128 s[8:11], s[0:1], 0x10
	s_load_b32 s14, s[0:1], 0x4
	s_load_b128 s[4:7], s[0:1], 0x28
	s_load_b32 s13, s[0:1], 0x44
	s_mov_b32 s2, ttmp9
	s_ashr_i32 s3, ttmp9, 31
	s_mov_b32 s12, 0
	s_mov_b32 s16, 0
	;; [unrolled: 1-line block ×5, first 2 shown]
	s_wait_kmcnt 0x0
	s_mul_u64 s[8:9], s[8:9], s[2:3]
	s_delay_alu instid0(SALU_CYCLE_1)
	s_lshl_b64 s[8:9], s[8:9], 2
	s_cmp_lg_u32 s14, 0
	s_add_nc_u64 s[4:5], s[4:5], s[8:9]
	s_cselect_b32 s20, -1, 0
	s_cmp_eq_u32 s14, 0
	s_cbranch_scc1 .LBB0_2
; %bb.1:
	s_load_b128 s[16:19], s[4:5], 0x0
.LBB0_2:
	s_and_b32 s8, 0xffff, s13
	s_mov_b32 s13, 0
	s_lshl_b32 s15, s8, 2
	s_delay_alu instid0(SALU_CYCLE_1)
	s_cmp_lt_u32 s15, s14
	s_cselect_b32 s9, -1, 0
	s_cmp_ge_u32 s15, s14
	s_mov_b32 s14, 0
	s_mov_b32 s15, 0
	s_cbranch_scc1 .LBB0_4
; %bb.3:
	s_lshl_b32 s12, s8, 4
	s_load_b128 s[12:15], s[4:5], s12 offset:0x0
.LBB0_4:
	s_load_b32 s4, s[0:1], 0x20
	s_wait_kmcnt 0x0
	s_add_f32 s0, s16, s17
	s_sub_f32 s1, s16, s17
	s_add_f32 s16, s12, s13
	s_sub_f32 s21, s12, s13
	;; [unrolled: 2-line block ×7, first 2 shown]
	s_mul_u64 s[0:1], s[10:11], s[2:3]
	s_add_f32 s17, s21, s18
	s_sub_f32 s2, s21, s18
	s_lshl_b64 s[0:1], s[0:1], 2
	s_and_not1_b32 vcc_lo, exec_lo, s20
	s_add_nc_u64 s[0:1], s[6:7], s[0:1]
	s_cbranch_vccz .LBB0_7
; %bb.5:
	s_and_not1_b32 vcc_lo, exec_lo, s9
	s_cbranch_vccz .LBB0_8
.LBB0_6:
	s_endpgm
.LBB0_7:
	s_add_f32 s3, s15, s2
	s_add_f32 s6, s12, s14
	;; [unrolled: 1-line block ×4, first 2 shown]
	s_mul_f32 s3, s4, s3
	s_mul_f32 s6, s4, s6
	;; [unrolled: 1-line block ×4, first 2 shown]
	v_mov_b32_e32 v4, 0
	v_dual_mov_b32 v0, s6 :: v_dual_mov_b32 v3, s3
	s_delay_alu instid0(SALU_CYCLE_1)
	v_dual_mov_b32 v1, s7 :: v_dual_mov_b32 v2, s10
	global_store_b128 v4, v[0:3], s[0:1]
	s_and_not1_b32 vcc_lo, exec_lo, s9
	s_cbranch_vccnz .LBB0_6
.LBB0_8:
	s_sub_f32 s3, s12, s14
	s_sub_f32 s6, s16, s17
	;; [unrolled: 1-line block ×4, first 2 shown]
	s_wait_alu 0xfffe
	s_mul_f32 s3, s4, s3
	s_mul_f32 s6, s4, s6
	s_mul_f32 s5, s4, s5
	s_mul_f32 s2, s4, s2
	s_lshl_b32 s4, s8, 4
	s_wait_alu 0xfffe
	v_dual_mov_b32 v0, s3 :: v_dual_mov_b32 v1, s6
	v_dual_mov_b32 v2, s5 :: v_dual_mov_b32 v3, s2
	v_mov_b32_e32 v4, s4
	global_store_b128 v4, v[0:3], s[0:1]
	s_endpgm
	.section	.rodata,"a",@progbits
	.p2align	6, 0x0
	.amdhsa_kernel _Z30fast_hadamard_transform_kernelI37fast_hadamard_transform_kernel_traitsILi1ELi3EfEEv18HadamardParamsBase
		.amdhsa_group_segment_fixed_size 0
		.amdhsa_private_segment_fixed_size 0
		.amdhsa_kernarg_size 312
		.amdhsa_user_sgpr_count 2
		.amdhsa_user_sgpr_dispatch_ptr 0
		.amdhsa_user_sgpr_queue_ptr 0
		.amdhsa_user_sgpr_kernarg_segment_ptr 1
		.amdhsa_user_sgpr_dispatch_id 0
		.amdhsa_user_sgpr_private_segment_size 0
		.amdhsa_wavefront_size32 1
		.amdhsa_uses_dynamic_stack 0
		.amdhsa_enable_private_segment 0
		.amdhsa_system_sgpr_workgroup_id_x 1
		.amdhsa_system_sgpr_workgroup_id_y 0
		.amdhsa_system_sgpr_workgroup_id_z 0
		.amdhsa_system_sgpr_workgroup_info 0
		.amdhsa_system_vgpr_workitem_id 0
		.amdhsa_next_free_vgpr 5
		.amdhsa_next_free_sgpr 22
		.amdhsa_reserve_vcc 1
		.amdhsa_float_round_mode_32 0
		.amdhsa_float_round_mode_16_64 0
		.amdhsa_float_denorm_mode_32 3
		.amdhsa_float_denorm_mode_16_64 3
		.amdhsa_fp16_overflow 0
		.amdhsa_workgroup_processor_mode 1
		.amdhsa_memory_ordered 1
		.amdhsa_forward_progress 1
		.amdhsa_inst_pref_size 4
		.amdhsa_round_robin_scheduling 0
		.amdhsa_exception_fp_ieee_invalid_op 0
		.amdhsa_exception_fp_denorm_src 0
		.amdhsa_exception_fp_ieee_div_zero 0
		.amdhsa_exception_fp_ieee_overflow 0
		.amdhsa_exception_fp_ieee_underflow 0
		.amdhsa_exception_fp_ieee_inexact 0
		.amdhsa_exception_int_div_zero 0
	.end_amdhsa_kernel
	.section	.text._Z30fast_hadamard_transform_kernelI37fast_hadamard_transform_kernel_traitsILi1ELi3EfEEv18HadamardParamsBase,"axG",@progbits,_Z30fast_hadamard_transform_kernelI37fast_hadamard_transform_kernel_traitsILi1ELi3EfEEv18HadamardParamsBase,comdat
.Lfunc_end0:
	.size	_Z30fast_hadamard_transform_kernelI37fast_hadamard_transform_kernel_traitsILi1ELi3EfEEv18HadamardParamsBase, .Lfunc_end0-_Z30fast_hadamard_transform_kernelI37fast_hadamard_transform_kernel_traitsILi1ELi3EfEEv18HadamardParamsBase
                                        ; -- End function
	.set _Z30fast_hadamard_transform_kernelI37fast_hadamard_transform_kernel_traitsILi1ELi3EfEEv18HadamardParamsBase.num_vgpr, 5
	.set _Z30fast_hadamard_transform_kernelI37fast_hadamard_transform_kernel_traitsILi1ELi3EfEEv18HadamardParamsBase.num_agpr, 0
	.set _Z30fast_hadamard_transform_kernelI37fast_hadamard_transform_kernel_traitsILi1ELi3EfEEv18HadamardParamsBase.numbered_sgpr, 22
	.set _Z30fast_hadamard_transform_kernelI37fast_hadamard_transform_kernel_traitsILi1ELi3EfEEv18HadamardParamsBase.num_named_barrier, 0
	.set _Z30fast_hadamard_transform_kernelI37fast_hadamard_transform_kernel_traitsILi1ELi3EfEEv18HadamardParamsBase.private_seg_size, 0
	.set _Z30fast_hadamard_transform_kernelI37fast_hadamard_transform_kernel_traitsILi1ELi3EfEEv18HadamardParamsBase.uses_vcc, 1
	.set _Z30fast_hadamard_transform_kernelI37fast_hadamard_transform_kernel_traitsILi1ELi3EfEEv18HadamardParamsBase.uses_flat_scratch, 0
	.set _Z30fast_hadamard_transform_kernelI37fast_hadamard_transform_kernel_traitsILi1ELi3EfEEv18HadamardParamsBase.has_dyn_sized_stack, 0
	.set _Z30fast_hadamard_transform_kernelI37fast_hadamard_transform_kernel_traitsILi1ELi3EfEEv18HadamardParamsBase.has_recursion, 0
	.set _Z30fast_hadamard_transform_kernelI37fast_hadamard_transform_kernel_traitsILi1ELi3EfEEv18HadamardParamsBase.has_indirect_call, 0
	.section	.AMDGPU.csdata,"",@progbits
; Kernel info:
; codeLenInByte = 428
; TotalNumSgprs: 24
; NumVgprs: 5
; ScratchSize: 0
; MemoryBound: 0
; FloatMode: 240
; IeeeMode: 1
; LDSByteSize: 0 bytes/workgroup (compile time only)
; SGPRBlocks: 0
; VGPRBlocks: 0
; NumSGPRsForWavesPerEU: 24
; NumVGPRsForWavesPerEU: 5
; Occupancy: 16
; WaveLimiterHint : 0
; COMPUTE_PGM_RSRC2:SCRATCH_EN: 0
; COMPUTE_PGM_RSRC2:USER_SGPR: 2
; COMPUTE_PGM_RSRC2:TRAP_HANDLER: 0
; COMPUTE_PGM_RSRC2:TGID_X_EN: 1
; COMPUTE_PGM_RSRC2:TGID_Y_EN: 0
; COMPUTE_PGM_RSRC2:TGID_Z_EN: 0
; COMPUTE_PGM_RSRC2:TIDIG_COMP_CNT: 0
	.section	.text._Z30fast_hadamard_transform_kernelI37fast_hadamard_transform_kernel_traitsILi2ELi4EfEEv18HadamardParamsBase,"axG",@progbits,_Z30fast_hadamard_transform_kernelI37fast_hadamard_transform_kernel_traitsILi2ELi4EfEEv18HadamardParamsBase,comdat
	.protected	_Z30fast_hadamard_transform_kernelI37fast_hadamard_transform_kernel_traitsILi2ELi4EfEEv18HadamardParamsBase ; -- Begin function _Z30fast_hadamard_transform_kernelI37fast_hadamard_transform_kernel_traitsILi2ELi4EfEEv18HadamardParamsBase
	.globl	_Z30fast_hadamard_transform_kernelI37fast_hadamard_transform_kernel_traitsILi2ELi4EfEEv18HadamardParamsBase
	.p2align	8
	.type	_Z30fast_hadamard_transform_kernelI37fast_hadamard_transform_kernel_traitsILi2ELi4EfEEv18HadamardParamsBase,@function
_Z30fast_hadamard_transform_kernelI37fast_hadamard_transform_kernel_traitsILi2ELi4EfEEv18HadamardParamsBase: ; @_Z30fast_hadamard_transform_kernelI37fast_hadamard_transform_kernel_traitsILi2ELi4EfEEv18HadamardParamsBase
; %bb.0:
	s_clause 0x3
	s_load_b128 s[8:11], s[0:1], 0x10
	s_load_b32 s2, s[0:1], 0x4
	s_load_b128 s[4:7], s[0:1], 0x28
	s_load_b32 s3, s[0:1], 0x44
	v_dual_mov_b32 v1, 0 :: v_dual_lshlrev_b32 v2, 2, v0
	s_mov_b32 s12, ttmp9
	s_ashr_i32 s13, ttmp9, 31
	v_dual_mov_b32 v5, 0 :: v_dual_mov_b32 v6, 0
	v_dual_mov_b32 v8, 0 :: v_dual_lshlrev_b32 v9, 4, v0
	v_mov_b32_e32 v7, 0
	s_wait_kmcnt 0x0
	s_mul_u64 s[8:9], s[8:9], s[12:13]
	v_cmp_gt_u32_e32 vcc_lo, s2, v2
	s_lshl_b64 s[8:9], s[8:9], 2
	s_delay_alu instid0(SALU_CYCLE_1)
	s_add_nc_u64 s[4:5], s[4:5], s[8:9]
	s_and_saveexec_b32 s8, vcc_lo
	s_cbranch_execz .LBB1_2
; %bb.1:
	global_load_b128 v[5:8], v9, s[4:5]
.LBB1_2:
	s_or_b32 exec_lo, exec_lo, s8
	s_and_b32 s3, 0xffff, s3
	s_wait_alu 0xfffe
	v_dual_mov_b32 v3, 0 :: v_dual_add_nc_u32 v4, s3, v0
	s_delay_alu instid0(VALU_DEP_1) | instskip(SKIP_2) | instid1(VALU_DEP_3)
	v_dual_mov_b32 v2, 0 :: v_dual_lshlrev_b32 v11, 2, v4
	v_lshlrev_b32_e32 v10, 4, v4
	v_mov_b32_e32 v4, 0
	v_cmp_gt_u32_e64 s2, s2, v11
	s_and_saveexec_b32 s3, s2
	s_cbranch_execz .LBB1_4
; %bb.3:
	global_load_b128 v[1:4], v10, s[4:5]
.LBB1_4:
	s_wait_alu 0xfffe
	s_or_b32 exec_lo, exec_lo, s3
	v_mbcnt_lo_u32_b32 v11, -1, 0
	s_wait_loadcnt 0x0
	v_dual_add_f32 v12, v5, v6 :: v_dual_add_f32 v13, v7, v8
	v_sub_f32_e32 v5, v5, v6
	v_dual_add_f32 v6, v1, v2 :: v_dual_sub_f32 v7, v7, v8
	v_sub_f32_e32 v1, v1, v2
	v_xor_b32_e32 v2, 1, v11
	v_add_f32_e32 v8, v3, v4
	s_load_b32 s4, s[0:1], 0x20
	s_mul_u64 s[0:1], s[10:11], s[12:13]
	s_delay_alu instid0(VALU_DEP_2) | instskip(SKIP_1) | instid1(SALU_CYCLE_1)
	v_cmp_gt_i32_e64 s3, 32, v2
	s_lshl_b64 s[0:1], s[0:1], 2
	s_add_nc_u64 s[0:1], s[6:7], s[0:1]
	s_wait_alu 0xf1ff
	v_cndmask_b32_e64 v2, v11, v2, s3
	v_dual_sub_f32 v3, v3, v4 :: v_dual_add_f32 v4, v12, v13
	v_dual_sub_f32 v11, v12, v13 :: v_dual_add_f32 v12, v6, v8
	s_delay_alu instid0(VALU_DEP_3)
	v_lshlrev_b32_e32 v2, 2, v2
	v_cmp_eq_u32_e64 s3, 0, v0
	v_sub_f32_e32 v6, v6, v8
	v_add_f32_e32 v8, v5, v7
	v_sub_f32_e32 v5, v5, v7
	ds_bpermute_b32 v14, v2, v11
	v_sub_f32_e32 v13, v1, v3
	s_wait_alu 0xf1ff
	v_cndmask_b32_e64 v0, -v4, v4, s3
	v_add_f32_e32 v7, v1, v3
	ds_bpermute_b32 v1, v2, v4
	ds_bpermute_b32 v3, v2, v8
	;; [unrolled: 1-line block ×6, first 2 shown]
	v_cndmask_b32_e64 v4, -v11, v11, s3
	v_cndmask_b32_e64 v5, -v5, v5, s3
	;; [unrolled: 1-line block ×3, first 2 shown]
	s_wait_dscnt 0x5
	v_add_f32_e32 v0, v0, v1
	ds_bpermute_b32 v17, v2, v7
	v_cndmask_b32_e64 v2, -v8, v8, s3
	v_cndmask_b32_e64 v8, -v12, v12, s3
	;; [unrolled: 1-line block ×3, first 2 shown]
	s_wait_dscnt 0x2
	v_add_f32_e32 v6, v6, v18
	v_dual_add_f32 v1, v2, v3 :: v_dual_add_f32 v2, v4, v14
	v_cndmask_b32_e64 v11, -v13, v13, s3
	v_dual_add_f32 v3, v5, v15 :: v_dual_add_f32 v4, v8, v16
	s_wait_dscnt 0x0
	v_add_f32_e32 v5, v7, v17
	s_delay_alu instid0(VALU_DEP_3)
	v_add_f32_e32 v7, v11, v19
	s_and_saveexec_b32 s3, vcc_lo
	s_cbranch_execnz .LBB1_7
; %bb.5:
	s_wait_alu 0xfffe
	s_or_b32 exec_lo, exec_lo, s3
	s_and_saveexec_b32 s3, s2
	s_cbranch_execnz .LBB1_8
.LBB1_6:
	s_endpgm
.LBB1_7:
	s_delay_alu instid0(VALU_DEP_1) | instskip(SKIP_2) | instid1(VALU_DEP_2)
	v_dual_add_f32 v8, v3, v7 :: v_dual_add_f32 v11, v2, v6
	v_dual_add_f32 v12, v1, v5 :: v_dual_add_f32 v15, v0, v4
	s_wait_kmcnt 0x0
	v_dual_mul_f32 v14, s4, v8 :: v_dual_mul_f32 v13, s4, v11
	s_delay_alu instid0(VALU_DEP_2)
	v_dual_mul_f32 v12, s4, v12 :: v_dual_mul_f32 v11, s4, v15
	global_store_b128 v9, v[11:14], s[0:1]
	s_wait_alu 0xfffe
	s_or_b32 exec_lo, exec_lo, s3
	s_and_saveexec_b32 s3, s2
	s_cbranch_execz .LBB1_6
.LBB1_8:
	v_dual_sub_f32 v0, v0, v4 :: v_dual_sub_f32 v1, v1, v5
	v_dual_sub_f32 v2, v2, v6 :: v_dual_sub_f32 v3, v3, v7
	s_wait_kmcnt 0x0
	s_delay_alu instid0(VALU_DEP_2) | instskip(NEXT) | instid1(VALU_DEP_2)
	v_dual_mul_f32 v0, s4, v0 :: v_dual_mul_f32 v1, s4, v1
	v_dual_mul_f32 v2, s4, v2 :: v_dual_mul_f32 v3, s4, v3
	global_store_b128 v10, v[0:3], s[0:1]
	s_endpgm
	.section	.rodata,"a",@progbits
	.p2align	6, 0x0
	.amdhsa_kernel _Z30fast_hadamard_transform_kernelI37fast_hadamard_transform_kernel_traitsILi2ELi4EfEEv18HadamardParamsBase
		.amdhsa_group_segment_fixed_size 0
		.amdhsa_private_segment_fixed_size 0
		.amdhsa_kernarg_size 312
		.amdhsa_user_sgpr_count 2
		.amdhsa_user_sgpr_dispatch_ptr 0
		.amdhsa_user_sgpr_queue_ptr 0
		.amdhsa_user_sgpr_kernarg_segment_ptr 1
		.amdhsa_user_sgpr_dispatch_id 0
		.amdhsa_user_sgpr_private_segment_size 0
		.amdhsa_wavefront_size32 1
		.amdhsa_uses_dynamic_stack 0
		.amdhsa_enable_private_segment 0
		.amdhsa_system_sgpr_workgroup_id_x 1
		.amdhsa_system_sgpr_workgroup_id_y 0
		.amdhsa_system_sgpr_workgroup_id_z 0
		.amdhsa_system_sgpr_workgroup_info 0
		.amdhsa_system_vgpr_workitem_id 0
		.amdhsa_next_free_vgpr 20
		.amdhsa_next_free_sgpr 14
		.amdhsa_reserve_vcc 1
		.amdhsa_float_round_mode_32 0
		.amdhsa_float_round_mode_16_64 0
		.amdhsa_float_denorm_mode_32 3
		.amdhsa_float_denorm_mode_16_64 3
		.amdhsa_fp16_overflow 0
		.amdhsa_workgroup_processor_mode 1
		.amdhsa_memory_ordered 1
		.amdhsa_forward_progress 1
		.amdhsa_inst_pref_size 6
		.amdhsa_round_robin_scheduling 0
		.amdhsa_exception_fp_ieee_invalid_op 0
		.amdhsa_exception_fp_denorm_src 0
		.amdhsa_exception_fp_ieee_div_zero 0
		.amdhsa_exception_fp_ieee_overflow 0
		.amdhsa_exception_fp_ieee_underflow 0
		.amdhsa_exception_fp_ieee_inexact 0
		.amdhsa_exception_int_div_zero 0
	.end_amdhsa_kernel
	.section	.text._Z30fast_hadamard_transform_kernelI37fast_hadamard_transform_kernel_traitsILi2ELi4EfEEv18HadamardParamsBase,"axG",@progbits,_Z30fast_hadamard_transform_kernelI37fast_hadamard_transform_kernel_traitsILi2ELi4EfEEv18HadamardParamsBase,comdat
.Lfunc_end1:
	.size	_Z30fast_hadamard_transform_kernelI37fast_hadamard_transform_kernel_traitsILi2ELi4EfEEv18HadamardParamsBase, .Lfunc_end1-_Z30fast_hadamard_transform_kernelI37fast_hadamard_transform_kernel_traitsILi2ELi4EfEEv18HadamardParamsBase
                                        ; -- End function
	.set _Z30fast_hadamard_transform_kernelI37fast_hadamard_transform_kernel_traitsILi2ELi4EfEEv18HadamardParamsBase.num_vgpr, 20
	.set _Z30fast_hadamard_transform_kernelI37fast_hadamard_transform_kernel_traitsILi2ELi4EfEEv18HadamardParamsBase.num_agpr, 0
	.set _Z30fast_hadamard_transform_kernelI37fast_hadamard_transform_kernel_traitsILi2ELi4EfEEv18HadamardParamsBase.numbered_sgpr, 14
	.set _Z30fast_hadamard_transform_kernelI37fast_hadamard_transform_kernel_traitsILi2ELi4EfEEv18HadamardParamsBase.num_named_barrier, 0
	.set _Z30fast_hadamard_transform_kernelI37fast_hadamard_transform_kernel_traitsILi2ELi4EfEEv18HadamardParamsBase.private_seg_size, 0
	.set _Z30fast_hadamard_transform_kernelI37fast_hadamard_transform_kernel_traitsILi2ELi4EfEEv18HadamardParamsBase.uses_vcc, 1
	.set _Z30fast_hadamard_transform_kernelI37fast_hadamard_transform_kernel_traitsILi2ELi4EfEEv18HadamardParamsBase.uses_flat_scratch, 0
	.set _Z30fast_hadamard_transform_kernelI37fast_hadamard_transform_kernel_traitsILi2ELi4EfEEv18HadamardParamsBase.has_dyn_sized_stack, 0
	.set _Z30fast_hadamard_transform_kernelI37fast_hadamard_transform_kernel_traitsILi2ELi4EfEEv18HadamardParamsBase.has_recursion, 0
	.set _Z30fast_hadamard_transform_kernelI37fast_hadamard_transform_kernel_traitsILi2ELi4EfEEv18HadamardParamsBase.has_indirect_call, 0
	.section	.AMDGPU.csdata,"",@progbits
; Kernel info:
; codeLenInByte = 672
; TotalNumSgprs: 16
; NumVgprs: 20
; ScratchSize: 0
; MemoryBound: 0
; FloatMode: 240
; IeeeMode: 1
; LDSByteSize: 0 bytes/workgroup (compile time only)
; SGPRBlocks: 0
; VGPRBlocks: 2
; NumSGPRsForWavesPerEU: 16
; NumVGPRsForWavesPerEU: 20
; Occupancy: 16
; WaveLimiterHint : 0
; COMPUTE_PGM_RSRC2:SCRATCH_EN: 0
; COMPUTE_PGM_RSRC2:USER_SGPR: 2
; COMPUTE_PGM_RSRC2:TRAP_HANDLER: 0
; COMPUTE_PGM_RSRC2:TGID_X_EN: 1
; COMPUTE_PGM_RSRC2:TGID_Y_EN: 0
; COMPUTE_PGM_RSRC2:TGID_Z_EN: 0
; COMPUTE_PGM_RSRC2:TIDIG_COMP_CNT: 0
	.section	.text._Z30fast_hadamard_transform_kernelI37fast_hadamard_transform_kernel_traitsILi4ELi5EfEEv18HadamardParamsBase,"axG",@progbits,_Z30fast_hadamard_transform_kernelI37fast_hadamard_transform_kernel_traitsILi4ELi5EfEEv18HadamardParamsBase,comdat
	.protected	_Z30fast_hadamard_transform_kernelI37fast_hadamard_transform_kernel_traitsILi4ELi5EfEEv18HadamardParamsBase ; -- Begin function _Z30fast_hadamard_transform_kernelI37fast_hadamard_transform_kernel_traitsILi4ELi5EfEEv18HadamardParamsBase
	.globl	_Z30fast_hadamard_transform_kernelI37fast_hadamard_transform_kernel_traitsILi4ELi5EfEEv18HadamardParamsBase
	.p2align	8
	.type	_Z30fast_hadamard_transform_kernelI37fast_hadamard_transform_kernel_traitsILi4ELi5EfEEv18HadamardParamsBase,@function
_Z30fast_hadamard_transform_kernelI37fast_hadamard_transform_kernel_traitsILi4ELi5EfEEv18HadamardParamsBase: ; @_Z30fast_hadamard_transform_kernelI37fast_hadamard_transform_kernel_traitsILi4ELi5EfEEv18HadamardParamsBase
; %bb.0:
	s_clause 0x3
	s_load_b128 s[8:11], s[0:1], 0x10
	s_load_b32 s2, s[0:1], 0x4
	s_load_b128 s[4:7], s[0:1], 0x28
	s_load_b32 s3, s[0:1], 0x44
	v_dual_mov_b32 v1, 0 :: v_dual_lshlrev_b32 v2, 2, v0
	s_mov_b32 s12, ttmp9
	s_ashr_i32 s13, ttmp9, 31
	v_dual_mov_b32 v5, 0 :: v_dual_mov_b32 v6, 0
	v_dual_mov_b32 v8, 0 :: v_dual_lshlrev_b32 v9, 4, v0
	v_mov_b32_e32 v7, 0
	s_wait_kmcnt 0x0
	s_mul_u64 s[8:9], s[8:9], s[12:13]
	v_cmp_gt_u32_e32 vcc_lo, s2, v2
	s_lshl_b64 s[8:9], s[8:9], 2
	s_delay_alu instid0(SALU_CYCLE_1)
	s_add_nc_u64 s[4:5], s[4:5], s[8:9]
	s_and_saveexec_b32 s8, vcc_lo
	s_cbranch_execz .LBB2_2
; %bb.1:
	global_load_b128 v[5:8], v9, s[4:5]
.LBB2_2:
	s_or_b32 exec_lo, exec_lo, s8
	s_and_b32 s3, 0xffff, s3
	s_wait_alu 0xfffe
	v_dual_mov_b32 v3, 0 :: v_dual_add_nc_u32 v4, s3, v0
	s_delay_alu instid0(VALU_DEP_1) | instskip(SKIP_2) | instid1(VALU_DEP_3)
	v_dual_mov_b32 v2, 0 :: v_dual_lshlrev_b32 v11, 2, v4
	v_lshlrev_b32_e32 v10, 4, v4
	v_mov_b32_e32 v4, 0
	v_cmp_gt_u32_e64 s2, s2, v11
	s_and_saveexec_b32 s3, s2
	s_cbranch_execz .LBB2_4
; %bb.3:
	global_load_b128 v[1:4], v10, s[4:5]
.LBB2_4:
	s_wait_alu 0xfffe
	s_or_b32 exec_lo, exec_lo, s3
	v_mbcnt_lo_u32_b32 v11, -1, 0
	s_wait_loadcnt 0x0
	v_add_f32_e32 v12, v5, v6
	v_sub_f32_e32 v5, v5, v6
	v_add_f32_e32 v13, v1, v2
	v_sub_f32_e32 v1, v1, v2
	v_xor_b32_e32 v6, 1, v11
	v_add_f32_e32 v2, v7, v8
	v_sub_f32_e32 v7, v7, v8
	v_add_f32_e32 v8, v3, v4
	v_sub_f32_e32 v3, v3, v4
	v_cmp_gt_i32_e64 s3, 32, v6
	v_and_b32_e32 v4, 1, v0
	v_add_f32_e32 v14, v12, v2
	v_dual_sub_f32 v2, v12, v2 :: v_dual_add_f32 v15, v5, v7
	s_wait_alu 0xf1ff
	v_cndmask_b32_e64 v6, v11, v6, s3
	v_sub_f32_e32 v5, v5, v7
	v_cmp_eq_u32_e64 s3, 0, v4
	v_and_b32_e32 v0, 2, v0
	s_delay_alu instid0(VALU_DEP_4)
	v_lshlrev_b32_e32 v6, 2, v6
	ds_bpermute_b32 v12, v6, v14
	ds_bpermute_b32 v16, v6, v15
	;; [unrolled: 1-line block ×3, first 2 shown]
	s_wait_alu 0xf1ff
	v_cndmask_b32_e64 v14, -v14, v14, s3
	v_add_f32_e32 v4, v1, v3
	v_cndmask_b32_e64 v15, -v15, v15, s3
	v_sub_f32_e32 v1, v1, v3
	v_xor_b32_e32 v3, 2, v11
	ds_bpermute_b32 v18, v6, v5
	v_cndmask_b32_e64 v2, -v2, v2, s3
	v_add_f32_e32 v7, v13, v8
	v_cndmask_b32_e64 v5, -v5, v5, s3
	v_cmp_gt_i32_e64 s4, 32, v3
	s_delay_alu instid0(VALU_DEP_1)
	v_cndmask_b32_e64 v3, v11, v3, s4
	v_sub_f32_e32 v8, v13, v8
	s_load_b32 s4, s[0:1], 0x20
	s_wait_dscnt 0x3
	v_add_f32_e32 v11, v14, v12
	ds_bpermute_b32 v19, v6, v4
	s_wait_dscnt 0x3
	v_add_f32_e32 v12, v15, v16
	s_wait_dscnt 0x2
	v_add_f32_e32 v2, v2, v17
	ds_bpermute_b32 v13, v6, v7
	v_lshlrev_b32_e32 v3, 2, v3
	ds_bpermute_b32 v20, v6, v8
	ds_bpermute_b32 v6, v6, v1
	s_wait_dscnt 0x4
	v_add_f32_e32 v5, v5, v18
	v_cndmask_b32_e64 v7, -v7, v7, s3
	ds_bpermute_b32 v14, v3, v12
	v_cndmask_b32_e64 v4, -v4, v4, s3
	v_cndmask_b32_e64 v8, -v8, v8, s3
	;; [unrolled: 1-line block ×3, first 2 shown]
	v_cmp_eq_u32_e64 s3, 0, v0
	ds_bpermute_b32 v16, v3, v5
	ds_bpermute_b32 v15, v3, v2
	s_mul_u64 s[0:1], s[10:11], s[12:13]
	s_wait_alu 0xf1ff
	v_cndmask_b32_e64 v0, -v11, v11, s3
	v_cndmask_b32_e64 v2, -v2, v2, s3
	s_wait_dscnt 0x6
	v_add_f32_e32 v4, v4, v19
	s_lshl_b64 s[0:1], s[0:1], 2
	s_wait_dscnt 0x5
	v_add_f32_e32 v7, v7, v13
	ds_bpermute_b32 v13, v3, v11
	ds_bpermute_b32 v18, v3, v4
	s_wait_dscnt 0x5
	v_add_f32_e32 v6, v1, v6
	v_cndmask_b32_e64 v1, -v12, v12, s3
	v_add_f32_e32 v8, v8, v20
	ds_bpermute_b32 v17, v3, v7
	s_add_nc_u64 s[0:1], s[6:7], s[0:1]
	ds_bpermute_b32 v20, v3, v6
	s_wait_dscnt 0x6
	v_add_f32_e32 v1, v1, v14
	ds_bpermute_b32 v19, v3, v8
	v_cndmask_b32_e64 v3, -v5, v5, s3
	v_cndmask_b32_e64 v5, -v7, v7, s3
	;; [unrolled: 1-line block ×4, first 2 shown]
	s_wait_dscnt 0x6
	v_add_f32_e32 v3, v3, v16
	v_cndmask_b32_e64 v11, -v6, v6, s3
	s_wait_dscnt 0x5
	v_add_f32_e32 v2, v2, v15
	s_wait_dscnt 0x4
	v_add_f32_e32 v0, v0, v13
	s_wait_dscnt 0x2
	v_dual_add_f32 v4, v5, v17 :: v_dual_add_f32 v5, v7, v18
	s_wait_dscnt 0x0
	v_dual_add_f32 v7, v11, v20 :: v_dual_add_f32 v6, v8, v19
	s_and_saveexec_b32 s3, vcc_lo
	s_cbranch_execnz .LBB2_7
; %bb.5:
	s_wait_alu 0xfffe
	s_or_b32 exec_lo, exec_lo, s3
	s_and_saveexec_b32 s3, s2
	s_cbranch_execnz .LBB2_8
.LBB2_6:
	s_endpgm
.LBB2_7:
	s_delay_alu instid0(VALU_DEP_1) | instskip(SKIP_2) | instid1(VALU_DEP_2)
	v_dual_add_f32 v8, v3, v7 :: v_dual_add_f32 v11, v2, v6
	v_dual_add_f32 v12, v1, v5 :: v_dual_add_f32 v15, v0, v4
	s_wait_kmcnt 0x0
	v_dual_mul_f32 v14, s4, v8 :: v_dual_mul_f32 v13, s4, v11
	s_delay_alu instid0(VALU_DEP_2)
	v_dual_mul_f32 v12, s4, v12 :: v_dual_mul_f32 v11, s4, v15
	global_store_b128 v9, v[11:14], s[0:1]
	s_wait_alu 0xfffe
	s_or_b32 exec_lo, exec_lo, s3
	s_and_saveexec_b32 s3, s2
	s_cbranch_execz .LBB2_6
.LBB2_8:
	v_dual_sub_f32 v0, v0, v4 :: v_dual_sub_f32 v1, v1, v5
	v_dual_sub_f32 v2, v2, v6 :: v_dual_sub_f32 v3, v3, v7
	s_wait_kmcnt 0x0
	s_delay_alu instid0(VALU_DEP_2) | instskip(NEXT) | instid1(VALU_DEP_2)
	v_dual_mul_f32 v0, s4, v0 :: v_dual_mul_f32 v1, s4, v1
	v_dual_mul_f32 v2, s4, v2 :: v_dual_mul_f32 v3, s4, v3
	global_store_b128 v10, v[0:3], s[0:1]
	s_endpgm
	.section	.rodata,"a",@progbits
	.p2align	6, 0x0
	.amdhsa_kernel _Z30fast_hadamard_transform_kernelI37fast_hadamard_transform_kernel_traitsILi4ELi5EfEEv18HadamardParamsBase
		.amdhsa_group_segment_fixed_size 0
		.amdhsa_private_segment_fixed_size 0
		.amdhsa_kernarg_size 312
		.amdhsa_user_sgpr_count 2
		.amdhsa_user_sgpr_dispatch_ptr 0
		.amdhsa_user_sgpr_queue_ptr 0
		.amdhsa_user_sgpr_kernarg_segment_ptr 1
		.amdhsa_user_sgpr_dispatch_id 0
		.amdhsa_user_sgpr_private_segment_size 0
		.amdhsa_wavefront_size32 1
		.amdhsa_uses_dynamic_stack 0
		.amdhsa_enable_private_segment 0
		.amdhsa_system_sgpr_workgroup_id_x 1
		.amdhsa_system_sgpr_workgroup_id_y 0
		.amdhsa_system_sgpr_workgroup_id_z 0
		.amdhsa_system_sgpr_workgroup_info 0
		.amdhsa_system_vgpr_workitem_id 0
		.amdhsa_next_free_vgpr 21
		.amdhsa_next_free_sgpr 14
		.amdhsa_reserve_vcc 1
		.amdhsa_float_round_mode_32 0
		.amdhsa_float_round_mode_16_64 0
		.amdhsa_float_denorm_mode_32 3
		.amdhsa_float_denorm_mode_16_64 3
		.amdhsa_fp16_overflow 0
		.amdhsa_workgroup_processor_mode 1
		.amdhsa_memory_ordered 1
		.amdhsa_forward_progress 1
		.amdhsa_inst_pref_size 8
		.amdhsa_round_robin_scheduling 0
		.amdhsa_exception_fp_ieee_invalid_op 0
		.amdhsa_exception_fp_denorm_src 0
		.amdhsa_exception_fp_ieee_div_zero 0
		.amdhsa_exception_fp_ieee_overflow 0
		.amdhsa_exception_fp_ieee_underflow 0
		.amdhsa_exception_fp_ieee_inexact 0
		.amdhsa_exception_int_div_zero 0
	.end_amdhsa_kernel
	.section	.text._Z30fast_hadamard_transform_kernelI37fast_hadamard_transform_kernel_traitsILi4ELi5EfEEv18HadamardParamsBase,"axG",@progbits,_Z30fast_hadamard_transform_kernelI37fast_hadamard_transform_kernel_traitsILi4ELi5EfEEv18HadamardParamsBase,comdat
.Lfunc_end2:
	.size	_Z30fast_hadamard_transform_kernelI37fast_hadamard_transform_kernel_traitsILi4ELi5EfEEv18HadamardParamsBase, .Lfunc_end2-_Z30fast_hadamard_transform_kernelI37fast_hadamard_transform_kernel_traitsILi4ELi5EfEEv18HadamardParamsBase
                                        ; -- End function
	.set _Z30fast_hadamard_transform_kernelI37fast_hadamard_transform_kernel_traitsILi4ELi5EfEEv18HadamardParamsBase.num_vgpr, 21
	.set _Z30fast_hadamard_transform_kernelI37fast_hadamard_transform_kernel_traitsILi4ELi5EfEEv18HadamardParamsBase.num_agpr, 0
	.set _Z30fast_hadamard_transform_kernelI37fast_hadamard_transform_kernel_traitsILi4ELi5EfEEv18HadamardParamsBase.numbered_sgpr, 14
	.set _Z30fast_hadamard_transform_kernelI37fast_hadamard_transform_kernel_traitsILi4ELi5EfEEv18HadamardParamsBase.num_named_barrier, 0
	.set _Z30fast_hadamard_transform_kernelI37fast_hadamard_transform_kernel_traitsILi4ELi5EfEEv18HadamardParamsBase.private_seg_size, 0
	.set _Z30fast_hadamard_transform_kernelI37fast_hadamard_transform_kernel_traitsILi4ELi5EfEEv18HadamardParamsBase.uses_vcc, 1
	.set _Z30fast_hadamard_transform_kernelI37fast_hadamard_transform_kernel_traitsILi4ELi5EfEEv18HadamardParamsBase.uses_flat_scratch, 0
	.set _Z30fast_hadamard_transform_kernelI37fast_hadamard_transform_kernel_traitsILi4ELi5EfEEv18HadamardParamsBase.has_dyn_sized_stack, 0
	.set _Z30fast_hadamard_transform_kernelI37fast_hadamard_transform_kernel_traitsILi4ELi5EfEEv18HadamardParamsBase.has_recursion, 0
	.set _Z30fast_hadamard_transform_kernelI37fast_hadamard_transform_kernel_traitsILi4ELi5EfEEv18HadamardParamsBase.has_indirect_call, 0
	.section	.AMDGPU.csdata,"",@progbits
; Kernel info:
; codeLenInByte = 912
; TotalNumSgprs: 16
; NumVgprs: 21
; ScratchSize: 0
; MemoryBound: 0
; FloatMode: 240
; IeeeMode: 1
; LDSByteSize: 0 bytes/workgroup (compile time only)
; SGPRBlocks: 0
; VGPRBlocks: 2
; NumSGPRsForWavesPerEU: 16
; NumVGPRsForWavesPerEU: 21
; Occupancy: 16
; WaveLimiterHint : 0
; COMPUTE_PGM_RSRC2:SCRATCH_EN: 0
; COMPUTE_PGM_RSRC2:USER_SGPR: 2
; COMPUTE_PGM_RSRC2:TRAP_HANDLER: 0
; COMPUTE_PGM_RSRC2:TGID_X_EN: 1
; COMPUTE_PGM_RSRC2:TGID_Y_EN: 0
; COMPUTE_PGM_RSRC2:TGID_Z_EN: 0
; COMPUTE_PGM_RSRC2:TIDIG_COMP_CNT: 0
	.section	.text._Z30fast_hadamard_transform_kernelI37fast_hadamard_transform_kernel_traitsILi8ELi6EfEEv18HadamardParamsBase,"axG",@progbits,_Z30fast_hadamard_transform_kernelI37fast_hadamard_transform_kernel_traitsILi8ELi6EfEEv18HadamardParamsBase,comdat
	.protected	_Z30fast_hadamard_transform_kernelI37fast_hadamard_transform_kernel_traitsILi8ELi6EfEEv18HadamardParamsBase ; -- Begin function _Z30fast_hadamard_transform_kernelI37fast_hadamard_transform_kernel_traitsILi8ELi6EfEEv18HadamardParamsBase
	.globl	_Z30fast_hadamard_transform_kernelI37fast_hadamard_transform_kernel_traitsILi8ELi6EfEEv18HadamardParamsBase
	.p2align	8
	.type	_Z30fast_hadamard_transform_kernelI37fast_hadamard_transform_kernel_traitsILi8ELi6EfEEv18HadamardParamsBase,@function
_Z30fast_hadamard_transform_kernelI37fast_hadamard_transform_kernel_traitsILi8ELi6EfEEv18HadamardParamsBase: ; @_Z30fast_hadamard_transform_kernelI37fast_hadamard_transform_kernel_traitsILi8ELi6EfEEv18HadamardParamsBase
; %bb.0:
	s_clause 0x3
	s_load_b128 s[8:11], s[0:1], 0x10
	s_load_b32 s2, s[0:1], 0x4
	s_load_b128 s[4:7], s[0:1], 0x28
	s_load_b32 s3, s[0:1], 0x44
	v_dual_mov_b32 v1, 0 :: v_dual_lshlrev_b32 v2, 2, v0
	s_mov_b32 s12, ttmp9
	s_ashr_i32 s13, ttmp9, 31
	v_dual_mov_b32 v5, 0 :: v_dual_mov_b32 v6, 0
	v_dual_mov_b32 v8, 0 :: v_dual_lshlrev_b32 v9, 4, v0
	v_mov_b32_e32 v7, 0
	s_wait_kmcnt 0x0
	s_mul_u64 s[8:9], s[8:9], s[12:13]
	v_cmp_gt_u32_e32 vcc_lo, s2, v2
	s_lshl_b64 s[8:9], s[8:9], 2
	s_delay_alu instid0(SALU_CYCLE_1)
	s_add_nc_u64 s[4:5], s[4:5], s[8:9]
	s_and_saveexec_b32 s8, vcc_lo
	s_cbranch_execz .LBB3_2
; %bb.1:
	global_load_b128 v[5:8], v9, s[4:5]
.LBB3_2:
	s_or_b32 exec_lo, exec_lo, s8
	s_and_b32 s3, 0xffff, s3
	s_wait_alu 0xfffe
	v_dual_mov_b32 v3, 0 :: v_dual_add_nc_u32 v4, s3, v0
	s_delay_alu instid0(VALU_DEP_1) | instskip(SKIP_2) | instid1(VALU_DEP_3)
	v_dual_mov_b32 v2, 0 :: v_dual_lshlrev_b32 v11, 2, v4
	v_lshlrev_b32_e32 v10, 4, v4
	v_mov_b32_e32 v4, 0
	v_cmp_gt_u32_e64 s2, s2, v11
	s_and_saveexec_b32 s3, s2
	s_cbranch_execz .LBB3_4
; %bb.3:
	global_load_b128 v[1:4], v10, s[4:5]
.LBB3_4:
	s_wait_alu 0xfffe
	s_or_b32 exec_lo, exec_lo, s3
	v_mbcnt_lo_u32_b32 v11, -1, 0
	s_wait_loadcnt 0x0
	v_add_f32_e32 v12, v5, v6
	v_sub_f32_e32 v5, v5, v6
	v_add_f32_e32 v6, v1, v2
	v_sub_f32_e32 v1, v1, v2
	v_xor_b32_e32 v13, 1, v11
	v_add_f32_e32 v2, v7, v8
	v_sub_f32_e32 v7, v7, v8
	v_add_f32_e32 v8, v3, v4
	v_sub_f32_e32 v3, v3, v4
	v_cmp_gt_i32_e64 s3, 32, v13
	v_dual_add_f32 v15, v12, v2 :: v_dual_and_b32 v4, 1, v0
	v_and_b32_e32 v14, 2, v0
	v_xor_b32_e32 v18, 2, v11
	s_wait_alu 0xf1ff
	v_cndmask_b32_e64 v13, v11, v13, s3
	v_cmp_eq_u32_e64 s3, 0, v4
	v_xor_b32_e32 v20, 4, v11
	v_sub_f32_e32 v2, v12, v2
	s_delay_alu instid0(VALU_DEP_4)
	v_dual_add_f32 v12, v6, v8 :: v_dual_lshlrev_b32 v13, 2, v13
	v_sub_f32_e32 v6, v6, v8
	v_cmp_gt_i32_e64 s4, 32, v18
	ds_bpermute_b32 v16, v13, v15
	s_wait_alu 0xf1ff
	v_cndmask_b32_e64 v15, -v15, v15, s3
	v_add_f32_e32 v8, v5, v7
	v_sub_f32_e32 v5, v5, v7
	v_add_f32_e32 v7, v1, v3
	v_sub_f32_e32 v1, v1, v3
	ds_bpermute_b32 v4, v13, v2
	ds_bpermute_b32 v19, v13, v12
	ds_bpermute_b32 v17, v13, v5
	v_cndmask_b32_e64 v18, v11, v18, s4
	v_cndmask_b32_e64 v2, -v2, v2, s3
	v_cndmask_b32_e64 v5, -v5, v5, s3
	;; [unrolled: 1-line block ×3, first 2 shown]
	ds_bpermute_b32 v21, v13, v7
	ds_bpermute_b32 v22, v13, v6
	v_cndmask_b32_e64 v7, -v7, v7, s3
	v_cmp_gt_i32_e64 s4, 32, v20
	s_wait_dscnt 0x5
	v_add_f32_e32 v15, v15, v16
	ds_bpermute_b32 v3, v13, v8
	v_cndmask_b32_e64 v8, -v8, v8, s3
	v_lshlrev_b32_e32 v18, 2, v18
	ds_bpermute_b32 v13, v13, v1
	v_cndmask_b32_e64 v1, -v1, v1, s3
	s_wait_dscnt 0x6
	v_add_f32_e32 v2, v2, v4
	s_wait_alu 0xf1ff
	v_cndmask_b32_e64 v11, v11, v20, s4
	s_wait_dscnt 0x4
	v_add_f32_e32 v4, v5, v17
	v_cndmask_b32_e64 v5, -v6, v6, s3
	v_add_f32_e32 v6, v12, v19
	v_cmp_eq_u32_e64 s3, 0, v14
	s_load_b32 s4, s[0:1], 0x20
	s_wait_dscnt 0x3
	v_add_f32_e32 v7, v7, v21
	s_wait_dscnt 0x2
	v_add_f32_e32 v5, v5, v22
	s_mul_u64 s[0:1], s[10:11], s[12:13]
	v_lshlrev_b32_e32 v11, 2, v11
	s_lshl_b64 s[0:1], s[0:1], 2
	s_delay_alu instid0(SALU_CYCLE_1)
	s_add_nc_u64 s[0:1], s[6:7], s[0:1]
	s_wait_dscnt 0x1
	v_add_f32_e32 v3, v8, v3
	ds_bpermute_b32 v8, v18, v15
	ds_bpermute_b32 v16, v18, v2
	v_cndmask_b32_e64 v2, -v2, v2, s3
	s_wait_dscnt 0x2
	v_add_f32_e32 v1, v1, v13
	ds_bpermute_b32 v12, v18, v3
	v_cndmask_b32_e64 v3, -v3, v3, s3
	v_cndmask_b32_e64 v13, -v15, v15, s3
	ds_bpermute_b32 v14, v18, v7
	ds_bpermute_b32 v15, v18, v5
	;; [unrolled: 1-line block ×3, first 2 shown]
	v_cndmask_b32_e64 v7, -v7, v7, s3
	v_cndmask_b32_e64 v5, -v5, v5, s3
	v_and_b32_e32 v0, 4, v0
	v_cndmask_b32_e64 v6, -v6, v6, s3
	s_wait_dscnt 0x5
	v_add_f32_e32 v8, v13, v8
	s_wait_dscnt 0x4
	v_add_f32_e32 v2, v2, v16
	;; [unrolled: 2-line block ×3, first 2 shown]
	ds_bpermute_b32 v17, v18, v4
	v_cndmask_b32_e64 v4, -v4, v4, s3
	ds_bpermute_b32 v18, v18, v1
	s_wait_dscnt 0x3
	v_add_f32_e32 v5, v5, v15
	ds_bpermute_b32 v13, v11, v3
	v_cndmask_b32_e64 v1, -v1, v1, s3
	v_cmp_eq_u32_e64 s3, 0, v0
	ds_bpermute_b32 v12, v11, v8
	ds_bpermute_b32 v16, v11, v2
	v_add_f32_e32 v7, v7, v14
	s_wait_alu 0xf1ff
	v_cndmask_b32_e64 v0, -v8, v8, s3
	v_cndmask_b32_e64 v2, -v2, v2, s3
	s_wait_dscnt 0x4
	v_add_f32_e32 v4, v4, v17
	ds_bpermute_b32 v15, v11, v4
	s_wait_dscnt 0x4
	v_add_f32_e32 v14, v1, v18
	v_cndmask_b32_e64 v1, -v3, v3, s3
	v_add_f32_e32 v6, v6, v19
	v_cndmask_b32_e64 v3, -v4, v4, s3
	ds_bpermute_b32 v18, v11, v7
	ds_bpermute_b32 v19, v11, v5
	s_wait_dscnt 0x5
	v_add_f32_e32 v1, v1, v13
	ds_bpermute_b32 v17, v11, v6
	v_cndmask_b32_e64 v4, -v6, v6, s3
	v_cndmask_b32_e64 v6, -v7, v7, s3
	;; [unrolled: 1-line block ×3, first 2 shown]
	s_wait_dscnt 0x3
	v_dual_add_f32 v0, v0, v12 :: v_dual_add_f32 v3, v3, v15
	ds_bpermute_b32 v11, v11, v14
	v_cndmask_b32_e64 v8, -v14, v14, s3
	v_add_f32_e32 v2, v2, v16
	s_wait_dscnt 0x2
	v_dual_add_f32 v5, v6, v18 :: v_dual_add_f32 v6, v7, v19
	s_wait_dscnt 0x1
	v_add_f32_e32 v4, v4, v17
	s_wait_dscnt 0x0
	v_add_f32_e32 v7, v8, v11
	s_and_saveexec_b32 s3, vcc_lo
	s_cbranch_execnz .LBB3_7
; %bb.5:
	s_wait_alu 0xfffe
	s_or_b32 exec_lo, exec_lo, s3
	s_and_saveexec_b32 s3, s2
	s_cbranch_execnz .LBB3_8
.LBB3_6:
	s_endpgm
.LBB3_7:
	s_delay_alu instid0(VALU_DEP_1) | instskip(SKIP_2) | instid1(VALU_DEP_2)
	v_dual_add_f32 v8, v3, v7 :: v_dual_add_f32 v11, v2, v6
	v_dual_add_f32 v12, v1, v5 :: v_dual_add_f32 v15, v0, v4
	s_wait_kmcnt 0x0
	v_dual_mul_f32 v14, s4, v8 :: v_dual_mul_f32 v13, s4, v11
	s_delay_alu instid0(VALU_DEP_2)
	v_dual_mul_f32 v12, s4, v12 :: v_dual_mul_f32 v11, s4, v15
	global_store_b128 v9, v[11:14], s[0:1]
	s_wait_alu 0xfffe
	s_or_b32 exec_lo, exec_lo, s3
	s_and_saveexec_b32 s3, s2
	s_cbranch_execz .LBB3_6
.LBB3_8:
	v_dual_sub_f32 v0, v0, v4 :: v_dual_sub_f32 v1, v1, v5
	v_dual_sub_f32 v2, v2, v6 :: v_dual_sub_f32 v3, v3, v7
	s_wait_kmcnt 0x0
	s_delay_alu instid0(VALU_DEP_2) | instskip(NEXT) | instid1(VALU_DEP_2)
	v_dual_mul_f32 v0, s4, v0 :: v_dual_mul_f32 v1, s4, v1
	v_dual_mul_f32 v2, s4, v2 :: v_dual_mul_f32 v3, s4, v3
	global_store_b128 v10, v[0:3], s[0:1]
	s_endpgm
	.section	.rodata,"a",@progbits
	.p2align	6, 0x0
	.amdhsa_kernel _Z30fast_hadamard_transform_kernelI37fast_hadamard_transform_kernel_traitsILi8ELi6EfEEv18HadamardParamsBase
		.amdhsa_group_segment_fixed_size 0
		.amdhsa_private_segment_fixed_size 0
		.amdhsa_kernarg_size 312
		.amdhsa_user_sgpr_count 2
		.amdhsa_user_sgpr_dispatch_ptr 0
		.amdhsa_user_sgpr_queue_ptr 0
		.amdhsa_user_sgpr_kernarg_segment_ptr 1
		.amdhsa_user_sgpr_dispatch_id 0
		.amdhsa_user_sgpr_private_segment_size 0
		.amdhsa_wavefront_size32 1
		.amdhsa_uses_dynamic_stack 0
		.amdhsa_enable_private_segment 0
		.amdhsa_system_sgpr_workgroup_id_x 1
		.amdhsa_system_sgpr_workgroup_id_y 0
		.amdhsa_system_sgpr_workgroup_id_z 0
		.amdhsa_system_sgpr_workgroup_info 0
		.amdhsa_system_vgpr_workitem_id 0
		.amdhsa_next_free_vgpr 23
		.amdhsa_next_free_sgpr 14
		.amdhsa_reserve_vcc 1
		.amdhsa_float_round_mode_32 0
		.amdhsa_float_round_mode_16_64 0
		.amdhsa_float_denorm_mode_32 3
		.amdhsa_float_denorm_mode_16_64 3
		.amdhsa_fp16_overflow 0
		.amdhsa_workgroup_processor_mode 1
		.amdhsa_memory_ordered 1
		.amdhsa_forward_progress 1
		.amdhsa_inst_pref_size 9
		.amdhsa_round_robin_scheduling 0
		.amdhsa_exception_fp_ieee_invalid_op 0
		.amdhsa_exception_fp_denorm_src 0
		.amdhsa_exception_fp_ieee_div_zero 0
		.amdhsa_exception_fp_ieee_overflow 0
		.amdhsa_exception_fp_ieee_underflow 0
		.amdhsa_exception_fp_ieee_inexact 0
		.amdhsa_exception_int_div_zero 0
	.end_amdhsa_kernel
	.section	.text._Z30fast_hadamard_transform_kernelI37fast_hadamard_transform_kernel_traitsILi8ELi6EfEEv18HadamardParamsBase,"axG",@progbits,_Z30fast_hadamard_transform_kernelI37fast_hadamard_transform_kernel_traitsILi8ELi6EfEEv18HadamardParamsBase,comdat
.Lfunc_end3:
	.size	_Z30fast_hadamard_transform_kernelI37fast_hadamard_transform_kernel_traitsILi8ELi6EfEEv18HadamardParamsBase, .Lfunc_end3-_Z30fast_hadamard_transform_kernelI37fast_hadamard_transform_kernel_traitsILi8ELi6EfEEv18HadamardParamsBase
                                        ; -- End function
	.set _Z30fast_hadamard_transform_kernelI37fast_hadamard_transform_kernel_traitsILi8ELi6EfEEv18HadamardParamsBase.num_vgpr, 23
	.set _Z30fast_hadamard_transform_kernelI37fast_hadamard_transform_kernel_traitsILi8ELi6EfEEv18HadamardParamsBase.num_agpr, 0
	.set _Z30fast_hadamard_transform_kernelI37fast_hadamard_transform_kernel_traitsILi8ELi6EfEEv18HadamardParamsBase.numbered_sgpr, 14
	.set _Z30fast_hadamard_transform_kernelI37fast_hadamard_transform_kernel_traitsILi8ELi6EfEEv18HadamardParamsBase.num_named_barrier, 0
	.set _Z30fast_hadamard_transform_kernelI37fast_hadamard_transform_kernel_traitsILi8ELi6EfEEv18HadamardParamsBase.private_seg_size, 0
	.set _Z30fast_hadamard_transform_kernelI37fast_hadamard_transform_kernel_traitsILi8ELi6EfEEv18HadamardParamsBase.uses_vcc, 1
	.set _Z30fast_hadamard_transform_kernelI37fast_hadamard_transform_kernel_traitsILi8ELi6EfEEv18HadamardParamsBase.uses_flat_scratch, 0
	.set _Z30fast_hadamard_transform_kernelI37fast_hadamard_transform_kernel_traitsILi8ELi6EfEEv18HadamardParamsBase.has_dyn_sized_stack, 0
	.set _Z30fast_hadamard_transform_kernelI37fast_hadamard_transform_kernel_traitsILi8ELi6EfEEv18HadamardParamsBase.has_recursion, 0
	.set _Z30fast_hadamard_transform_kernelI37fast_hadamard_transform_kernel_traitsILi8ELi6EfEEv18HadamardParamsBase.has_indirect_call, 0
	.section	.AMDGPU.csdata,"",@progbits
; Kernel info:
; codeLenInByte = 1132
; TotalNumSgprs: 16
; NumVgprs: 23
; ScratchSize: 0
; MemoryBound: 0
; FloatMode: 240
; IeeeMode: 1
; LDSByteSize: 0 bytes/workgroup (compile time only)
; SGPRBlocks: 0
; VGPRBlocks: 2
; NumSGPRsForWavesPerEU: 16
; NumVGPRsForWavesPerEU: 23
; Occupancy: 16
; WaveLimiterHint : 0
; COMPUTE_PGM_RSRC2:SCRATCH_EN: 0
; COMPUTE_PGM_RSRC2:USER_SGPR: 2
; COMPUTE_PGM_RSRC2:TRAP_HANDLER: 0
; COMPUTE_PGM_RSRC2:TGID_X_EN: 1
; COMPUTE_PGM_RSRC2:TGID_Y_EN: 0
; COMPUTE_PGM_RSRC2:TGID_Z_EN: 0
; COMPUTE_PGM_RSRC2:TIDIG_COMP_CNT: 0
	.section	.text._Z30fast_hadamard_transform_kernelI37fast_hadamard_transform_kernel_traitsILi16ELi7EfEEv18HadamardParamsBase,"axG",@progbits,_Z30fast_hadamard_transform_kernelI37fast_hadamard_transform_kernel_traitsILi16ELi7EfEEv18HadamardParamsBase,comdat
	.protected	_Z30fast_hadamard_transform_kernelI37fast_hadamard_transform_kernel_traitsILi16ELi7EfEEv18HadamardParamsBase ; -- Begin function _Z30fast_hadamard_transform_kernelI37fast_hadamard_transform_kernel_traitsILi16ELi7EfEEv18HadamardParamsBase
	.globl	_Z30fast_hadamard_transform_kernelI37fast_hadamard_transform_kernel_traitsILi16ELi7EfEEv18HadamardParamsBase
	.p2align	8
	.type	_Z30fast_hadamard_transform_kernelI37fast_hadamard_transform_kernel_traitsILi16ELi7EfEEv18HadamardParamsBase,@function
_Z30fast_hadamard_transform_kernelI37fast_hadamard_transform_kernel_traitsILi16ELi7EfEEv18HadamardParamsBase: ; @_Z30fast_hadamard_transform_kernelI37fast_hadamard_transform_kernel_traitsILi16ELi7EfEEv18HadamardParamsBase
; %bb.0:
	s_clause 0x3
	s_load_b128 s[8:11], s[0:1], 0x10
	s_load_b32 s2, s[0:1], 0x4
	s_load_b128 s[4:7], s[0:1], 0x28
	s_load_b32 s3, s[0:1], 0x44
	v_dual_mov_b32 v1, 0 :: v_dual_lshlrev_b32 v2, 2, v0
	s_mov_b32 s12, ttmp9
	s_ashr_i32 s13, ttmp9, 31
	v_dual_mov_b32 v5, 0 :: v_dual_mov_b32 v6, 0
	v_dual_mov_b32 v8, 0 :: v_dual_lshlrev_b32 v9, 4, v0
	v_mov_b32_e32 v7, 0
	s_wait_kmcnt 0x0
	s_mul_u64 s[8:9], s[8:9], s[12:13]
	v_cmp_gt_u32_e32 vcc_lo, s2, v2
	s_lshl_b64 s[8:9], s[8:9], 2
	s_delay_alu instid0(SALU_CYCLE_1)
	s_add_nc_u64 s[4:5], s[4:5], s[8:9]
	s_and_saveexec_b32 s8, vcc_lo
	s_cbranch_execz .LBB4_2
; %bb.1:
	global_load_b128 v[5:8], v9, s[4:5]
.LBB4_2:
	s_or_b32 exec_lo, exec_lo, s8
	s_and_b32 s3, 0xffff, s3
	s_wait_alu 0xfffe
	v_dual_mov_b32 v3, 0 :: v_dual_add_nc_u32 v4, s3, v0
	s_delay_alu instid0(VALU_DEP_1) | instskip(SKIP_2) | instid1(VALU_DEP_3)
	v_dual_mov_b32 v2, 0 :: v_dual_lshlrev_b32 v11, 2, v4
	v_lshlrev_b32_e32 v10, 4, v4
	v_mov_b32_e32 v4, 0
	v_cmp_gt_u32_e64 s2, s2, v11
	s_and_saveexec_b32 s3, s2
	s_cbranch_execz .LBB4_4
; %bb.3:
	global_load_b128 v[1:4], v10, s[4:5]
.LBB4_4:
	s_wait_alu 0xfffe
	s_or_b32 exec_lo, exec_lo, s3
	v_mbcnt_lo_u32_b32 v11, -1, 0
	s_wait_loadcnt 0x0
	v_add_f32_e32 v12, v5, v6
	v_sub_f32_e32 v5, v5, v6
	v_add_f32_e32 v6, v1, v2
	v_sub_f32_e32 v1, v1, v2
	v_xor_b32_e32 v13, 1, v11
	v_add_f32_e32 v2, v7, v8
	v_sub_f32_e32 v7, v7, v8
	v_add_f32_e32 v8, v3, v4
	v_sub_f32_e32 v3, v3, v4
	v_cmp_gt_i32_e64 s3, 32, v13
	v_dual_add_f32 v15, v12, v2 :: v_dual_and_b32 v4, 1, v0
	v_dual_add_f32 v17, v5, v7 :: v_dual_and_b32 v14, 2, v0
	s_wait_alu 0xf1ff
	s_delay_alu instid0(VALU_DEP_3) | instskip(NEXT) | instid1(VALU_DEP_3)
	v_cndmask_b32_e64 v13, v11, v13, s3
	v_cmp_eq_u32_e64 s3, 0, v4
	v_dual_sub_f32 v5, v5, v7 :: v_dual_and_b32 v16, 4, v0
	v_xor_b32_e32 v18, 4, v11
	s_delay_alu instid0(VALU_DEP_4)
	v_dual_sub_f32 v2, v12, v2 :: v_dual_lshlrev_b32 v13, 2, v13
	v_dual_add_f32 v12, v6, v8 :: v_dual_add_f32 v7, v1, v3
	v_dual_sub_f32 v6, v6, v8 :: v_dual_sub_f32 v1, v1, v3
	ds_bpermute_b32 v8, v13, v15
	v_xor_b32_e32 v3, 2, v11
	s_wait_alu 0xf1ff
	v_cndmask_b32_e64 v4, -v15, v15, s3
	ds_bpermute_b32 v15, v13, v17
	ds_bpermute_b32 v21, v13, v12
	;; [unrolled: 1-line block ×3, first 2 shown]
	v_cmp_gt_i32_e64 s4, 32, v3
	ds_bpermute_b32 v20, v13, v5
	v_cndmask_b32_e64 v17, -v17, v17, s3
	v_cndmask_b32_e64 v2, -v2, v2, s3
	;; [unrolled: 1-line block ×3, first 2 shown]
	v_cndmask_b32_e64 v3, v11, v3, s4
	v_cndmask_b32_e64 v12, -v12, v12, s3
	ds_bpermute_b32 v22, v13, v6
	v_cndmask_b32_e64 v6, -v6, v6, s3
	s_wait_dscnt 0x5
	v_dual_add_f32 v4, v4, v8 :: v_dual_lshlrev_b32 v3, 2, v3
	ds_bpermute_b32 v8, v13, v7
	ds_bpermute_b32 v13, v13, v1
	v_cndmask_b32_e64 v7, -v7, v7, s3
	v_cndmask_b32_e64 v1, -v1, v1, s3
	v_cmp_gt_i32_e64 s3, 32, v18
	s_wait_dscnt 0x5
	v_dual_add_f32 v15, v17, v15 :: v_dual_add_f32 v12, v12, v21
	ds_bpermute_b32 v23, v3, v4
	s_wait_dscnt 0x4
	v_dual_add_f32 v2, v2, v19 :: v_dual_add_f32 v5, v5, v20
	s_wait_alu 0xf1ff
	v_cndmask_b32_e64 v18, v11, v18, s3
	v_cmp_eq_u32_e64 s3, 0, v14
	ds_bpermute_b32 v21, v3, v12
	ds_bpermute_b32 v19, v3, v2
	;; [unrolled: 1-line block ×3, first 2 shown]
	s_wait_dscnt 0x6
	v_add_f32_e32 v6, v6, v22
	s_wait_alu 0xf1ff
	v_cndmask_b32_e64 v4, -v4, v4, s3
	v_lshlrev_b32_e32 v17, 2, v18
	ds_bpermute_b32 v18, v3, v15
	v_cndmask_b32_e64 v2, -v2, v2, s3
	s_wait_dscnt 0x6
	v_add_f32_e32 v7, v7, v8
	v_cndmask_b32_e64 v8, -v15, v15, s3
	s_wait_dscnt 0x5
	v_add_f32_e32 v1, v1, v13
	ds_bpermute_b32 v14, v3, v6
	v_cndmask_b32_e64 v5, -v5, v5, s3
	ds_bpermute_b32 v13, v3, v7
	v_cndmask_b32_e64 v12, -v12, v12, s3
	s_wait_dscnt 0x6
	v_add_f32_e32 v4, v4, v23
	v_cndmask_b32_e64 v7, -v7, v7, s3
	v_cndmask_b32_e64 v6, -v6, v6, s3
	ds_bpermute_b32 v15, v17, v4
	s_wait_dscnt 0x4
	v_dual_add_f32 v2, v2, v19 :: v_dual_add_f32 v5, v5, v20
	s_wait_dscnt 0x3
	v_add_f32_e32 v8, v8, v18
	ds_bpermute_b32 v3, v3, v1
	v_cndmask_b32_e64 v1, -v1, v1, s3
	v_cmp_eq_u32_e64 s3, 0, v16
	v_add_f32_e32 v12, v12, v21
	s_wait_dscnt 0x3
	v_add_f32_e32 v6, v6, v14
	ds_bpermute_b32 v18, v17, v8
	s_wait_dscnt 0x3
	v_add_f32_e32 v7, v7, v13
	s_wait_alu 0xf1ff
	v_cndmask_b32_e64 v4, -v4, v4, s3
	ds_bpermute_b32 v19, v17, v2
	ds_bpermute_b32 v20, v17, v5
	;; [unrolled: 1-line block ×3, first 2 shown]
	v_xor_b32_e32 v13, 8, v11
	v_cndmask_b32_e64 v2, -v2, v2, s3
	v_cndmask_b32_e64 v5, -v5, v5, s3
	;; [unrolled: 1-line block ×3, first 2 shown]
	s_delay_alu instid0(VALU_DEP_4)
	v_cmp_gt_i32_e64 s4, 32, v13
	s_wait_dscnt 0x4
	v_add_f32_e32 v1, v1, v3
	ds_bpermute_b32 v21, v17, v12
	v_cndmask_b32_e64 v3, -v8, v8, s3
	v_add_f32_e32 v4, v4, v15
	ds_bpermute_b32 v8, v17, v7
	ds_bpermute_b32 v15, v17, v1
	s_wait_alu 0xf1ff
	v_cndmask_b32_e64 v11, v11, v13, s4
	v_cndmask_b32_e64 v12, -v12, v12, s3
	v_cndmask_b32_e64 v7, -v7, v7, s3
	;; [unrolled: 1-line block ×3, first 2 shown]
	s_wait_dscnt 0x5
	v_dual_add_f32 v3, v3, v18 :: v_dual_add_f32 v2, v2, v19
	s_wait_dscnt 0x4
	v_add_f32_e32 v5, v5, v20
	s_wait_dscnt 0x3
	v_dual_add_f32 v6, v6, v14 :: v_dual_lshlrev_b32 v11, 2, v11
	s_load_b32 s4, s[0:1], 0x20
	s_mul_u64 s[0:1], s[10:11], s[12:13]
	s_delay_alu instid0(SALU_CYCLE_1) | instskip(NEXT) | instid1(SALU_CYCLE_1)
	s_lshl_b64 s[0:1], s[0:1], 2
	s_add_nc_u64 s[0:1], s[6:7], s[0:1]
	s_wait_dscnt 0x2
	v_add_f32_e32 v12, v12, v21
	ds_bpermute_b32 v13, v11, v4
	ds_bpermute_b32 v16, v11, v3
	s_wait_dscnt 0x2
	v_dual_add_f32 v7, v7, v8 :: v_dual_add_f32 v8, v1, v15
	ds_bpermute_b32 v17, v11, v2
	ds_bpermute_b32 v14, v11, v5
	;; [unrolled: 1-line block ×6, first 2 shown]
	v_and_b32_e32 v0, 8, v0
	s_delay_alu instid0(VALU_DEP_1) | instskip(SKIP_1) | instid1(VALU_DEP_1)
	v_cmp_eq_u32_e64 s3, 0, v0
	s_wait_alu 0xf1ff
	v_cndmask_b32_e64 v0, -v4, v4, s3
	v_cndmask_b32_e64 v1, -v3, v3, s3
	;; [unrolled: 1-line block ×8, first 2 shown]
	s_wait_dscnt 0x6
	v_dual_add_f32 v0, v0, v13 :: v_dual_add_f32 v1, v1, v16
	s_wait_dscnt 0x2
	v_dual_add_f32 v2, v2, v17 :: v_dual_add_f32 v5, v5, v18
	v_dual_add_f32 v3, v3, v14 :: v_dual_add_f32 v4, v4, v15
	s_wait_dscnt 0x1
	v_add_f32_e32 v6, v6, v19
	s_wait_dscnt 0x0
	v_add_f32_e32 v7, v7, v11
	s_and_saveexec_b32 s3, vcc_lo
	s_cbranch_execnz .LBB4_7
; %bb.5:
	s_wait_alu 0xfffe
	s_or_b32 exec_lo, exec_lo, s3
	s_and_saveexec_b32 s3, s2
	s_cbranch_execnz .LBB4_8
.LBB4_6:
	s_endpgm
.LBB4_7:
	s_delay_alu instid0(VALU_DEP_1) | instskip(SKIP_2) | instid1(VALU_DEP_2)
	v_dual_add_f32 v8, v3, v7 :: v_dual_add_f32 v11, v2, v6
	v_dual_add_f32 v12, v1, v5 :: v_dual_add_f32 v15, v0, v4
	s_wait_kmcnt 0x0
	v_dual_mul_f32 v14, s4, v8 :: v_dual_mul_f32 v13, s4, v11
	s_delay_alu instid0(VALU_DEP_2)
	v_dual_mul_f32 v12, s4, v12 :: v_dual_mul_f32 v11, s4, v15
	global_store_b128 v9, v[11:14], s[0:1]
	s_wait_alu 0xfffe
	s_or_b32 exec_lo, exec_lo, s3
	s_and_saveexec_b32 s3, s2
	s_cbranch_execz .LBB4_6
.LBB4_8:
	v_dual_sub_f32 v0, v0, v4 :: v_dual_sub_f32 v1, v1, v5
	v_dual_sub_f32 v2, v2, v6 :: v_dual_sub_f32 v3, v3, v7
	s_wait_kmcnt 0x0
	s_delay_alu instid0(VALU_DEP_2) | instskip(NEXT) | instid1(VALU_DEP_2)
	v_dual_mul_f32 v0, s4, v0 :: v_dual_mul_f32 v1, s4, v1
	v_dual_mul_f32 v2, s4, v2 :: v_dual_mul_f32 v3, s4, v3
	global_store_b128 v10, v[0:3], s[0:1]
	s_endpgm
	.section	.rodata,"a",@progbits
	.p2align	6, 0x0
	.amdhsa_kernel _Z30fast_hadamard_transform_kernelI37fast_hadamard_transform_kernel_traitsILi16ELi7EfEEv18HadamardParamsBase
		.amdhsa_group_segment_fixed_size 0
		.amdhsa_private_segment_fixed_size 0
		.amdhsa_kernarg_size 312
		.amdhsa_user_sgpr_count 2
		.amdhsa_user_sgpr_dispatch_ptr 0
		.amdhsa_user_sgpr_queue_ptr 0
		.amdhsa_user_sgpr_kernarg_segment_ptr 1
		.amdhsa_user_sgpr_dispatch_id 0
		.amdhsa_user_sgpr_private_segment_size 0
		.amdhsa_wavefront_size32 1
		.amdhsa_uses_dynamic_stack 0
		.amdhsa_enable_private_segment 0
		.amdhsa_system_sgpr_workgroup_id_x 1
		.amdhsa_system_sgpr_workgroup_id_y 0
		.amdhsa_system_sgpr_workgroup_id_z 0
		.amdhsa_system_sgpr_workgroup_info 0
		.amdhsa_system_vgpr_workitem_id 0
		.amdhsa_next_free_vgpr 24
		.amdhsa_next_free_sgpr 14
		.amdhsa_reserve_vcc 1
		.amdhsa_float_round_mode_32 0
		.amdhsa_float_round_mode_16_64 0
		.amdhsa_float_denorm_mode_32 3
		.amdhsa_float_denorm_mode_16_64 3
		.amdhsa_fp16_overflow 0
		.amdhsa_workgroup_processor_mode 1
		.amdhsa_memory_ordered 1
		.amdhsa_forward_progress 1
		.amdhsa_inst_pref_size 11
		.amdhsa_round_robin_scheduling 0
		.amdhsa_exception_fp_ieee_invalid_op 0
		.amdhsa_exception_fp_denorm_src 0
		.amdhsa_exception_fp_ieee_div_zero 0
		.amdhsa_exception_fp_ieee_overflow 0
		.amdhsa_exception_fp_ieee_underflow 0
		.amdhsa_exception_fp_ieee_inexact 0
		.amdhsa_exception_int_div_zero 0
	.end_amdhsa_kernel
	.section	.text._Z30fast_hadamard_transform_kernelI37fast_hadamard_transform_kernel_traitsILi16ELi7EfEEv18HadamardParamsBase,"axG",@progbits,_Z30fast_hadamard_transform_kernelI37fast_hadamard_transform_kernel_traitsILi16ELi7EfEEv18HadamardParamsBase,comdat
.Lfunc_end4:
	.size	_Z30fast_hadamard_transform_kernelI37fast_hadamard_transform_kernel_traitsILi16ELi7EfEEv18HadamardParamsBase, .Lfunc_end4-_Z30fast_hadamard_transform_kernelI37fast_hadamard_transform_kernel_traitsILi16ELi7EfEEv18HadamardParamsBase
                                        ; -- End function
	.set _Z30fast_hadamard_transform_kernelI37fast_hadamard_transform_kernel_traitsILi16ELi7EfEEv18HadamardParamsBase.num_vgpr, 24
	.set _Z30fast_hadamard_transform_kernelI37fast_hadamard_transform_kernel_traitsILi16ELi7EfEEv18HadamardParamsBase.num_agpr, 0
	.set _Z30fast_hadamard_transform_kernelI37fast_hadamard_transform_kernel_traitsILi16ELi7EfEEv18HadamardParamsBase.numbered_sgpr, 14
	.set _Z30fast_hadamard_transform_kernelI37fast_hadamard_transform_kernel_traitsILi16ELi7EfEEv18HadamardParamsBase.num_named_barrier, 0
	.set _Z30fast_hadamard_transform_kernelI37fast_hadamard_transform_kernel_traitsILi16ELi7EfEEv18HadamardParamsBase.private_seg_size, 0
	.set _Z30fast_hadamard_transform_kernelI37fast_hadamard_transform_kernel_traitsILi16ELi7EfEEv18HadamardParamsBase.uses_vcc, 1
	.set _Z30fast_hadamard_transform_kernelI37fast_hadamard_transform_kernel_traitsILi16ELi7EfEEv18HadamardParamsBase.uses_flat_scratch, 0
	.set _Z30fast_hadamard_transform_kernelI37fast_hadamard_transform_kernel_traitsILi16ELi7EfEEv18HadamardParamsBase.has_dyn_sized_stack, 0
	.set _Z30fast_hadamard_transform_kernelI37fast_hadamard_transform_kernel_traitsILi16ELi7EfEEv18HadamardParamsBase.has_recursion, 0
	.set _Z30fast_hadamard_transform_kernelI37fast_hadamard_transform_kernel_traitsILi16ELi7EfEEv18HadamardParamsBase.has_indirect_call, 0
	.section	.AMDGPU.csdata,"",@progbits
; Kernel info:
; codeLenInByte = 1364
; TotalNumSgprs: 16
; NumVgprs: 24
; ScratchSize: 0
; MemoryBound: 0
; FloatMode: 240
; IeeeMode: 1
; LDSByteSize: 0 bytes/workgroup (compile time only)
; SGPRBlocks: 0
; VGPRBlocks: 2
; NumSGPRsForWavesPerEU: 16
; NumVGPRsForWavesPerEU: 24
; Occupancy: 16
; WaveLimiterHint : 0
; COMPUTE_PGM_RSRC2:SCRATCH_EN: 0
; COMPUTE_PGM_RSRC2:USER_SGPR: 2
; COMPUTE_PGM_RSRC2:TRAP_HANDLER: 0
; COMPUTE_PGM_RSRC2:TGID_X_EN: 1
; COMPUTE_PGM_RSRC2:TGID_Y_EN: 0
; COMPUTE_PGM_RSRC2:TGID_Z_EN: 0
; COMPUTE_PGM_RSRC2:TIDIG_COMP_CNT: 0
	.section	.text._Z30fast_hadamard_transform_kernelI37fast_hadamard_transform_kernel_traitsILi32ELi8EfEEv18HadamardParamsBase,"axG",@progbits,_Z30fast_hadamard_transform_kernelI37fast_hadamard_transform_kernel_traitsILi32ELi8EfEEv18HadamardParamsBase,comdat
	.protected	_Z30fast_hadamard_transform_kernelI37fast_hadamard_transform_kernel_traitsILi32ELi8EfEEv18HadamardParamsBase ; -- Begin function _Z30fast_hadamard_transform_kernelI37fast_hadamard_transform_kernel_traitsILi32ELi8EfEEv18HadamardParamsBase
	.globl	_Z30fast_hadamard_transform_kernelI37fast_hadamard_transform_kernel_traitsILi32ELi8EfEEv18HadamardParamsBase
	.p2align	8
	.type	_Z30fast_hadamard_transform_kernelI37fast_hadamard_transform_kernel_traitsILi32ELi8EfEEv18HadamardParamsBase,@function
_Z30fast_hadamard_transform_kernelI37fast_hadamard_transform_kernel_traitsILi32ELi8EfEEv18HadamardParamsBase: ; @_Z30fast_hadamard_transform_kernelI37fast_hadamard_transform_kernel_traitsILi32ELi8EfEEv18HadamardParamsBase
; %bb.0:
	s_clause 0x3
	s_load_b128 s[8:11], s[0:1], 0x10
	s_load_b32 s2, s[0:1], 0x4
	s_load_b128 s[4:7], s[0:1], 0x28
	s_load_b32 s3, s[0:1], 0x44
	v_dual_mov_b32 v1, 0 :: v_dual_lshlrev_b32 v2, 2, v0
	s_mov_b32 s12, ttmp9
	s_ashr_i32 s13, ttmp9, 31
	v_dual_mov_b32 v5, 0 :: v_dual_mov_b32 v6, 0
	v_dual_mov_b32 v8, 0 :: v_dual_lshlrev_b32 v9, 4, v0
	v_mov_b32_e32 v7, 0
	s_wait_kmcnt 0x0
	s_mul_u64 s[8:9], s[8:9], s[12:13]
	v_cmp_gt_u32_e32 vcc_lo, s2, v2
	s_lshl_b64 s[8:9], s[8:9], 2
	s_delay_alu instid0(SALU_CYCLE_1)
	s_add_nc_u64 s[4:5], s[4:5], s[8:9]
	s_and_saveexec_b32 s8, vcc_lo
	s_cbranch_execz .LBB5_2
; %bb.1:
	global_load_b128 v[5:8], v9, s[4:5]
.LBB5_2:
	s_or_b32 exec_lo, exec_lo, s8
	s_and_b32 s3, 0xffff, s3
	s_wait_alu 0xfffe
	v_dual_mov_b32 v3, 0 :: v_dual_add_nc_u32 v4, s3, v0
	s_delay_alu instid0(VALU_DEP_1) | instskip(SKIP_2) | instid1(VALU_DEP_3)
	v_dual_mov_b32 v2, 0 :: v_dual_lshlrev_b32 v11, 2, v4
	v_lshlrev_b32_e32 v10, 4, v4
	v_mov_b32_e32 v4, 0
	v_cmp_gt_u32_e64 s2, s2, v11
	s_and_saveexec_b32 s3, s2
	s_cbranch_execz .LBB5_4
; %bb.3:
	global_load_b128 v[1:4], v10, s[4:5]
.LBB5_4:
	s_wait_alu 0xfffe
	s_or_b32 exec_lo, exec_lo, s3
	v_mbcnt_lo_u32_b32 v11, -1, 0
	s_wait_loadcnt 0x0
	v_add_f32_e32 v12, v5, v6
	v_sub_f32_e32 v5, v5, v6
	v_add_f32_e32 v6, v1, v2
	v_sub_f32_e32 v1, v1, v2
	v_xor_b32_e32 v13, 1, v11
	v_add_f32_e32 v2, v7, v8
	v_sub_f32_e32 v7, v7, v8
	v_add_f32_e32 v8, v3, v4
	v_sub_f32_e32 v3, v3, v4
	v_cmp_gt_i32_e64 s3, 32, v13
	v_dual_add_f32 v15, v12, v2 :: v_dual_and_b32 v4, 1, v0
	v_and_b32_e32 v14, 2, v0
	v_sub_f32_e32 v2, v12, v2
	s_wait_alu 0xf1ff
	v_cndmask_b32_e64 v13, v11, v13, s3
	v_cmp_eq_u32_e64 s3, 0, v4
	v_add_f32_e32 v12, v6, v8
	v_sub_f32_e32 v6, v6, v8
	v_xor_b32_e32 v4, 4, v11
	v_lshlrev_b32_e32 v13, 2, v13
	ds_bpermute_b32 v16, v13, v15
	s_wait_alu 0xf1ff
	v_cndmask_b32_e64 v15, -v15, v15, s3
	v_add_f32_e32 v8, v5, v7
	v_sub_f32_e32 v5, v5, v7
	v_add_f32_e32 v7, v1, v3
	v_sub_f32_e32 v1, v1, v3
	v_xor_b32_e32 v3, 2, v11
	ds_bpermute_b32 v18, v13, v2
	ds_bpermute_b32 v20, v13, v12
	;; [unrolled: 1-line block ×4, first 2 shown]
	v_cmp_gt_i32_e64 s4, 32, v3
	v_cndmask_b32_e64 v2, -v2, v2, s3
	v_cndmask_b32_e64 v12, -v12, v12, s3
	;; [unrolled: 1-line block ×4, first 2 shown]
	v_cndmask_b32_e64 v3, v11, v3, s4
	v_cmp_gt_i32_e64 s4, 32, v4
	s_wait_dscnt 0x4
	v_add_f32_e32 v15, v15, v16
	ds_bpermute_b32 v17, v13, v8
	v_cndmask_b32_e64 v8, -v8, v8, s3
	v_lshlrev_b32_e32 v3, 2, v3
	ds_bpermute_b32 v16, v13, v6
	ds_bpermute_b32 v13, v13, v1
	v_cndmask_b32_e64 v6, -v6, v6, s3
	v_cndmask_b32_e64 v1, -v1, v1, s3
	s_wait_dscnt 0x6
	v_add_f32_e32 v2, v2, v18
	s_wait_dscnt 0x4
	v_dual_add_f32 v12, v12, v20 :: v_dual_add_f32 v7, v7, v21
	v_cmp_eq_u32_e64 s3, 0, v14
	s_wait_dscnt 0x3
	v_add_f32_e32 v5, v5, v19
	s_wait_alu 0xf1ff
	v_cndmask_b32_e64 v4, v11, v4, s4
	v_xor_b32_e32 v21, 8, v11
	s_delay_alu instid0(VALU_DEP_2) | instskip(NEXT) | instid1(VALU_DEP_2)
	v_lshlrev_b32_e32 v4, 2, v4
	v_cmp_gt_i32_e64 s4, 32, v21
	s_wait_dscnt 0x2
	v_add_f32_e32 v8, v8, v17
	ds_bpermute_b32 v22, v3, v15
	ds_bpermute_b32 v17, v3, v2
	;; [unrolled: 1-line block ×3, first 2 shown]
	v_cndmask_b32_e64 v15, -v15, v15, s3
	ds_bpermute_b32 v14, v3, v8
	s_wait_dscnt 0x4
	v_dual_add_f32 v6, v6, v16 :: v_dual_add_f32 v1, v1, v13
	ds_bpermute_b32 v18, v3, v5
	ds_bpermute_b32 v19, v3, v12
	v_cndmask_b32_e64 v8, -v8, v8, s3
	v_cndmask_b32_e64 v2, -v2, v2, s3
	;; [unrolled: 1-line block ×5, first 2 shown]
	s_wait_dscnt 0x5
	v_add_f32_e32 v13, v15, v22
	ds_bpermute_b32 v15, v3, v6
	ds_bpermute_b32 v3, v3, v1
	s_wait_dscnt 0x6
	v_add_f32_e32 v2, v2, v17
	s_wait_dscnt 0x4
	v_dual_add_f32 v8, v8, v14 :: v_dual_add_f32 v7, v7, v20
	ds_bpermute_b32 v16, v4, v13
	v_cndmask_b32_e64 v1, -v1, v1, s3
	v_and_b32_e32 v14, 4, v0
	ds_bpermute_b32 v17, v4, v8
	v_cndmask_b32_e64 v6, -v6, v6, s3
	s_wait_dscnt 0x5
	v_add_f32_e32 v5, v5, v18
	ds_bpermute_b32 v18, v4, v2
	s_wait_dscnt 0x4
	v_add_f32_e32 v6, v6, v15
	s_wait_dscnt 0x3
	v_add_f32_e32 v1, v1, v3
	v_cmp_eq_u32_e64 s3, 0, v14
	s_wait_alu 0xf1ff
	v_cndmask_b32_e64 v3, v11, v21, s4
	ds_bpermute_b32 v14, v4, v7
	v_cndmask_b32_e64 v13, -v13, v13, s3
	v_add_f32_e32 v12, v12, v19
	ds_bpermute_b32 v19, v4, v5
	v_cndmask_b32_e64 v8, -v8, v8, s3
	v_lshlrev_b32_e32 v3, 2, v3
	s_wait_dscnt 0x4
	v_add_f32_e32 v13, v13, v16
	ds_bpermute_b32 v20, v4, v12
	v_cndmask_b32_e64 v2, -v2, v2, s3
	s_wait_dscnt 0x4
	v_dual_add_f32 v8, v8, v17 :: v_dual_and_b32 v17, 8, v0
	ds_bpermute_b32 v15, v4, v6
	ds_bpermute_b32 v4, v4, v1
	;; [unrolled: 1-line block ×3, first 2 shown]
	v_cndmask_b32_e64 v5, -v5, v5, s3
	v_cndmask_b32_e64 v12, -v12, v12, s3
	;; [unrolled: 1-line block ×3, first 2 shown]
	s_wait_dscnt 0x6
	v_add_f32_e32 v2, v2, v18
	v_cndmask_b32_e64 v6, -v6, v6, s3
	v_cndmask_b32_e64 v1, -v1, v1, s3
	ds_bpermute_b32 v18, v3, v8
	v_cmp_eq_u32_e64 s3, 0, v17
	s_wait_dscnt 0x6
	v_add_f32_e32 v7, v7, v14
	s_wait_dscnt 0x5
	v_add_f32_e32 v5, v5, v19
	v_xor_b32_e32 v14, 16, v11
	ds_bpermute_b32 v19, v3, v2
	s_wait_alu 0xf1ff
	v_cndmask_b32_e64 v13, -v13, v13, s3
	s_wait_dscnt 0x5
	v_add_f32_e32 v12, v12, v20
	ds_bpermute_b32 v20, v3, v5
	v_cmp_gt_i32_e64 s4, 32, v14
	v_cndmask_b32_e64 v8, -v8, v8, s3
	s_wait_dscnt 0x4
	v_dual_add_f32 v6, v6, v15 :: v_dual_add_f32 v1, v1, v4
	ds_bpermute_b32 v17, v3, v12
	s_wait_alu 0xf1ff
	v_cndmask_b32_e64 v11, v11, v14, s4
	s_wait_dscnt 0x4
	v_add_f32_e32 v4, v13, v16
	ds_bpermute_b32 v13, v3, v7
	ds_bpermute_b32 v15, v3, v6
	;; [unrolled: 1-line block ×3, first 2 shown]
	v_cndmask_b32_e64 v5, -v5, v5, s3
	s_wait_dscnt 0x6
	v_dual_add_f32 v8, v8, v18 :: v_dual_lshlrev_b32 v11, 2, v11
	v_cndmask_b32_e64 v2, -v2, v2, s3
	v_cndmask_b32_e64 v12, -v12, v12, s3
	;; [unrolled: 1-line block ×5, first 2 shown]
	s_wait_dscnt 0x4
	v_dual_add_f32 v2, v2, v19 :: v_dual_add_f32 v5, v5, v20
	ds_bpermute_b32 v16, v11, v8
	ds_bpermute_b32 v14, v11, v4
	s_load_b32 s4, s[0:1], 0x20
	s_mul_u64 s[0:1], s[10:11], s[12:13]
	s_wait_dscnt 0x5
	v_add_f32_e32 v12, v12, v17
	s_lshl_b64 s[0:1], s[0:1], 2
	s_wait_dscnt 0x4
	v_add_f32_e32 v7, v7, v13
	ds_bpermute_b32 v17, v11, v2
	s_wait_dscnt 0x3
	v_add_f32_e32 v13, v1, v3
	ds_bpermute_b32 v3, v11, v5
	v_and_b32_e32 v0, 16, v0
	ds_bpermute_b32 v18, v11, v7
	s_add_nc_u64 s[0:1], s[6:7], s[0:1]
	v_cmp_eq_u32_e64 s3, 0, v0
	s_wait_alu 0xf1ff
	s_delay_alu instid0(VALU_DEP_1)
	v_cndmask_b32_e64 v1, -v8, v8, s3
	v_add_f32_e32 v6, v6, v15
	ds_bpermute_b32 v15, v11, v12
	v_cndmask_b32_e64 v0, -v4, v4, s3
	v_cndmask_b32_e64 v2, -v2, v2, s3
	s_wait_dscnt 0x5
	v_add_f32_e32 v1, v1, v16
	ds_bpermute_b32 v19, v11, v6
	ds_bpermute_b32 v11, v11, v13
	v_cndmask_b32_e64 v4, -v5, v5, s3
	v_cndmask_b32_e64 v5, -v12, v12, s3
	;; [unrolled: 1-line block ×5, first 2 shown]
	s_wait_dscnt 0x6
	v_add_f32_e32 v0, v0, v14
	s_wait_dscnt 0x4
	v_dual_add_f32 v2, v2, v17 :: v_dual_add_f32 v3, v4, v3
	s_wait_dscnt 0x2
	v_dual_add_f32 v4, v5, v15 :: v_dual_add_f32 v5, v7, v18
	s_wait_dscnt 0x1
	v_add_f32_e32 v6, v6, v19
	s_wait_dscnt 0x0
	v_add_f32_e32 v7, v8, v11
	s_and_saveexec_b32 s3, vcc_lo
	s_cbranch_execnz .LBB5_7
; %bb.5:
	s_wait_alu 0xfffe
	s_or_b32 exec_lo, exec_lo, s3
	s_and_saveexec_b32 s3, s2
	s_cbranch_execnz .LBB5_8
.LBB5_6:
	s_endpgm
.LBB5_7:
	s_delay_alu instid0(VALU_DEP_1) | instskip(SKIP_2) | instid1(VALU_DEP_2)
	v_dual_add_f32 v8, v3, v7 :: v_dual_add_f32 v11, v2, v6
	v_dual_add_f32 v12, v1, v5 :: v_dual_add_f32 v15, v0, v4
	s_wait_kmcnt 0x0
	v_dual_mul_f32 v14, s4, v8 :: v_dual_mul_f32 v13, s4, v11
	s_delay_alu instid0(VALU_DEP_2)
	v_dual_mul_f32 v12, s4, v12 :: v_dual_mul_f32 v11, s4, v15
	global_store_b128 v9, v[11:14], s[0:1]
	s_wait_alu 0xfffe
	s_or_b32 exec_lo, exec_lo, s3
	s_and_saveexec_b32 s3, s2
	s_cbranch_execz .LBB5_6
.LBB5_8:
	v_dual_sub_f32 v0, v0, v4 :: v_dual_sub_f32 v1, v1, v5
	v_dual_sub_f32 v2, v2, v6 :: v_dual_sub_f32 v3, v3, v7
	s_wait_kmcnt 0x0
	s_delay_alu instid0(VALU_DEP_2) | instskip(NEXT) | instid1(VALU_DEP_2)
	v_dual_mul_f32 v0, s4, v0 :: v_dual_mul_f32 v1, s4, v1
	v_dual_mul_f32 v2, s4, v2 :: v_dual_mul_f32 v3, s4, v3
	global_store_b128 v10, v[0:3], s[0:1]
	s_endpgm
	.section	.rodata,"a",@progbits
	.p2align	6, 0x0
	.amdhsa_kernel _Z30fast_hadamard_transform_kernelI37fast_hadamard_transform_kernel_traitsILi32ELi8EfEEv18HadamardParamsBase
		.amdhsa_group_segment_fixed_size 0
		.amdhsa_private_segment_fixed_size 0
		.amdhsa_kernarg_size 312
		.amdhsa_user_sgpr_count 2
		.amdhsa_user_sgpr_dispatch_ptr 0
		.amdhsa_user_sgpr_queue_ptr 0
		.amdhsa_user_sgpr_kernarg_segment_ptr 1
		.amdhsa_user_sgpr_dispatch_id 0
		.amdhsa_user_sgpr_private_segment_size 0
		.amdhsa_wavefront_size32 1
		.amdhsa_uses_dynamic_stack 0
		.amdhsa_enable_private_segment 0
		.amdhsa_system_sgpr_workgroup_id_x 1
		.amdhsa_system_sgpr_workgroup_id_y 0
		.amdhsa_system_sgpr_workgroup_id_z 0
		.amdhsa_system_sgpr_workgroup_info 0
		.amdhsa_system_vgpr_workitem_id 0
		.amdhsa_next_free_vgpr 23
		.amdhsa_next_free_sgpr 14
		.amdhsa_reserve_vcc 1
		.amdhsa_float_round_mode_32 0
		.amdhsa_float_round_mode_16_64 0
		.amdhsa_float_denorm_mode_32 3
		.amdhsa_float_denorm_mode_16_64 3
		.amdhsa_fp16_overflow 0
		.amdhsa_workgroup_processor_mode 1
		.amdhsa_memory_ordered 1
		.amdhsa_forward_progress 1
		.amdhsa_inst_pref_size 13
		.amdhsa_round_robin_scheduling 0
		.amdhsa_exception_fp_ieee_invalid_op 0
		.amdhsa_exception_fp_denorm_src 0
		.amdhsa_exception_fp_ieee_div_zero 0
		.amdhsa_exception_fp_ieee_overflow 0
		.amdhsa_exception_fp_ieee_underflow 0
		.amdhsa_exception_fp_ieee_inexact 0
		.amdhsa_exception_int_div_zero 0
	.end_amdhsa_kernel
	.section	.text._Z30fast_hadamard_transform_kernelI37fast_hadamard_transform_kernel_traitsILi32ELi8EfEEv18HadamardParamsBase,"axG",@progbits,_Z30fast_hadamard_transform_kernelI37fast_hadamard_transform_kernel_traitsILi32ELi8EfEEv18HadamardParamsBase,comdat
.Lfunc_end5:
	.size	_Z30fast_hadamard_transform_kernelI37fast_hadamard_transform_kernel_traitsILi32ELi8EfEEv18HadamardParamsBase, .Lfunc_end5-_Z30fast_hadamard_transform_kernelI37fast_hadamard_transform_kernel_traitsILi32ELi8EfEEv18HadamardParamsBase
                                        ; -- End function
	.set _Z30fast_hadamard_transform_kernelI37fast_hadamard_transform_kernel_traitsILi32ELi8EfEEv18HadamardParamsBase.num_vgpr, 23
	.set _Z30fast_hadamard_transform_kernelI37fast_hadamard_transform_kernel_traitsILi32ELi8EfEEv18HadamardParamsBase.num_agpr, 0
	.set _Z30fast_hadamard_transform_kernelI37fast_hadamard_transform_kernel_traitsILi32ELi8EfEEv18HadamardParamsBase.numbered_sgpr, 14
	.set _Z30fast_hadamard_transform_kernelI37fast_hadamard_transform_kernel_traitsILi32ELi8EfEEv18HadamardParamsBase.num_named_barrier, 0
	.set _Z30fast_hadamard_transform_kernelI37fast_hadamard_transform_kernel_traitsILi32ELi8EfEEv18HadamardParamsBase.private_seg_size, 0
	.set _Z30fast_hadamard_transform_kernelI37fast_hadamard_transform_kernel_traitsILi32ELi8EfEEv18HadamardParamsBase.uses_vcc, 1
	.set _Z30fast_hadamard_transform_kernelI37fast_hadamard_transform_kernel_traitsILi32ELi8EfEEv18HadamardParamsBase.uses_flat_scratch, 0
	.set _Z30fast_hadamard_transform_kernelI37fast_hadamard_transform_kernel_traitsILi32ELi8EfEEv18HadamardParamsBase.has_dyn_sized_stack, 0
	.set _Z30fast_hadamard_transform_kernelI37fast_hadamard_transform_kernel_traitsILi32ELi8EfEEv18HadamardParamsBase.has_recursion, 0
	.set _Z30fast_hadamard_transform_kernelI37fast_hadamard_transform_kernel_traitsILi32ELi8EfEEv18HadamardParamsBase.has_indirect_call, 0
	.section	.AMDGPU.csdata,"",@progbits
; Kernel info:
; codeLenInByte = 1588
; TotalNumSgprs: 16
; NumVgprs: 23
; ScratchSize: 0
; MemoryBound: 0
; FloatMode: 240
; IeeeMode: 1
; LDSByteSize: 0 bytes/workgroup (compile time only)
; SGPRBlocks: 0
; VGPRBlocks: 2
; NumSGPRsForWavesPerEU: 16
; NumVGPRsForWavesPerEU: 23
; Occupancy: 16
; WaveLimiterHint : 0
; COMPUTE_PGM_RSRC2:SCRATCH_EN: 0
; COMPUTE_PGM_RSRC2:USER_SGPR: 2
; COMPUTE_PGM_RSRC2:TRAP_HANDLER: 0
; COMPUTE_PGM_RSRC2:TGID_X_EN: 1
; COMPUTE_PGM_RSRC2:TGID_Y_EN: 0
; COMPUTE_PGM_RSRC2:TGID_Z_EN: 0
; COMPUTE_PGM_RSRC2:TIDIG_COMP_CNT: 0
	.section	.text._Z30fast_hadamard_transform_kernelI37fast_hadamard_transform_kernel_traitsILi32ELi9EfEEv18HadamardParamsBase,"axG",@progbits,_Z30fast_hadamard_transform_kernelI37fast_hadamard_transform_kernel_traitsILi32ELi9EfEEv18HadamardParamsBase,comdat
	.protected	_Z30fast_hadamard_transform_kernelI37fast_hadamard_transform_kernel_traitsILi32ELi9EfEEv18HadamardParamsBase ; -- Begin function _Z30fast_hadamard_transform_kernelI37fast_hadamard_transform_kernel_traitsILi32ELi9EfEEv18HadamardParamsBase
	.globl	_Z30fast_hadamard_transform_kernelI37fast_hadamard_transform_kernel_traitsILi32ELi9EfEEv18HadamardParamsBase
	.p2align	8
	.type	_Z30fast_hadamard_transform_kernelI37fast_hadamard_transform_kernel_traitsILi32ELi9EfEEv18HadamardParamsBase,@function
_Z30fast_hadamard_transform_kernelI37fast_hadamard_transform_kernel_traitsILi32ELi9EfEEv18HadamardParamsBase: ; @_Z30fast_hadamard_transform_kernelI37fast_hadamard_transform_kernel_traitsILi32ELi9EfEEv18HadamardParamsBase
; %bb.0:
	s_clause 0x3
	s_load_b128 s[8:11], s[0:1], 0x10
	s_load_b32 s14, s[0:1], 0x4
	s_load_b128 s[4:7], s[0:1], 0x28
	s_load_b32 s2, s[0:1], 0x44
	v_dual_mov_b32 v1, 0 :: v_dual_lshlrev_b32 v2, 2, v0
	s_mov_b32 s12, ttmp9
	s_ashr_i32 s13, ttmp9, 31
	v_dual_mov_b32 v5, 0 :: v_dual_mov_b32 v6, 0
	v_dual_mov_b32 v8, 0 :: v_dual_lshlrev_b32 v17, 4, v0
	v_mov_b32_e32 v7, 0
	s_wait_kmcnt 0x0
	s_mul_u64 s[8:9], s[8:9], s[12:13]
	v_cmp_gt_u32_e32 vcc_lo, s14, v2
	s_lshl_b64 s[8:9], s[8:9], 2
	s_delay_alu instid0(SALU_CYCLE_1)
	s_add_nc_u64 s[8:9], s[4:5], s[8:9]
	s_and_saveexec_b32 s3, vcc_lo
	s_cbranch_execz .LBB6_2
; %bb.1:
	global_load_b128 v[5:8], v17, s[8:9]
.LBB6_2:
	s_or_b32 exec_lo, exec_lo, s3
	s_and_b32 s4, 0xffff, s2
	s_delay_alu instid0(SALU_CYCLE_1) | instskip(NEXT) | instid1(VALU_DEP_1)
	v_dual_mov_b32 v2, 0 :: v_dual_add_nc_u32 v9, s4, v0
	v_dual_mov_b32 v3, 0 :: v_dual_lshlrev_b32 v4, 2, v9
	v_lshlrev_b32_e32 v18, 4, v9
	s_delay_alu instid0(VALU_DEP_2)
	v_cmp_gt_u32_e64 s2, s14, v4
	v_mov_b32_e32 v4, 0
	s_and_saveexec_b32 s3, s2
	s_cbranch_execz .LBB6_4
; %bb.3:
	global_load_b128 v[1:4], v18, s[8:9]
.LBB6_4:
	s_or_b32 exec_lo, exec_lo, s3
	v_dual_mov_b32 v9, 0 :: v_dual_add_nc_u32 v10, s4, v9
	v_dual_mov_b32 v13, 0 :: v_dual_mov_b32 v16, 0
	v_mov_b32_e32 v15, 0
	s_delay_alu instid0(VALU_DEP_3) | instskip(SKIP_1) | instid1(VALU_DEP_2)
	v_dual_mov_b32 v14, 0 :: v_dual_lshlrev_b32 v11, 2, v10
	v_lshlrev_b32_e32 v19, 4, v10
	v_cmp_gt_u32_e64 s3, s14, v11
	s_and_saveexec_b32 s5, s3
	s_cbranch_execz .LBB6_6
; %bb.5:
	global_load_b128 v[13:16], v19, s[8:9]
.LBB6_6:
	s_wait_alu 0xfffe
	s_or_b32 exec_lo, exec_lo, s5
	v_dual_mov_b32 v11, 0 :: v_dual_add_nc_u32 v12, s4, v10
	s_delay_alu instid0(VALU_DEP_1) | instskip(SKIP_2) | instid1(VALU_DEP_3)
	v_dual_mov_b32 v10, 0 :: v_dual_lshlrev_b32 v21, 2, v12
	v_lshlrev_b32_e32 v20, 4, v12
	v_mov_b32_e32 v12, 0
	v_cmp_gt_u32_e64 s4, s14, v21
	s_and_saveexec_b32 s5, s4
	s_cbranch_execz .LBB6_8
; %bb.7:
	global_load_b128 v[9:12], v20, s[8:9]
.LBB6_8:
	s_wait_alu 0xfffe
	s_or_b32 exec_lo, exec_lo, s5
	v_mbcnt_lo_u32_b32 v22, -1, 0
	s_load_b32 s5, s[0:1], 0x20
	s_wait_loadcnt 0x0
	v_add_f32_e32 v21, v5, v6
	v_sub_f32_e32 v5, v5, v6
	v_add_f32_e32 v6, v1, v2
	v_xor_b32_e32 v23, 1, v22
	v_sub_f32_e32 v1, v1, v2
	v_add_f32_e32 v2, v13, v14
	v_sub_f32_e32 v13, v13, v14
	v_add_f32_e32 v14, v9, v10
	v_cmp_gt_i32_e64 s0, 32, v23
	v_dual_sub_f32 v9, v9, v10 :: v_dual_add_f32 v10, v7, v8
	v_sub_f32_e32 v7, v7, v8
	v_add_f32_e32 v8, v3, v4
	v_sub_f32_e32 v3, v3, v4
	v_add_f32_e32 v4, v15, v16
	v_cndmask_b32_e64 v23, v22, v23, s0
	v_sub_f32_e32 v15, v15, v16
	v_add_f32_e32 v16, v11, v12
	v_dual_sub_f32 v11, v11, v12 :: v_dual_add_f32 v12, v21, v10
	v_dual_sub_f32 v10, v21, v10 :: v_dual_add_f32 v21, v6, v8
	v_sub_f32_e32 v6, v6, v8
	v_dual_add_f32 v8, v2, v4 :: v_dual_lshlrev_b32 v23, 2, v23
	v_add_f32_e32 v24, v5, v7
	v_dual_sub_f32 v2, v2, v4 :: v_dual_sub_f32 v5, v5, v7
	v_and_b32_e32 v7, 1, v0
	v_dual_add_f32 v4, v14, v16 :: v_dual_add_f32 v27, v1, v3
	v_dual_sub_f32 v14, v14, v16 :: v_dual_sub_f32 v1, v1, v3
	ds_bpermute_b32 v16, v23, v12
	ds_bpermute_b32 v26, v23, v10
	v_cmp_eq_u32_e64 s0, 0, v7
	ds_bpermute_b32 v28, v23, v27
	ds_bpermute_b32 v29, v23, v6
	ds_bpermute_b32 v25, v23, v24
	ds_bpermute_b32 v30, v23, v1
	s_wait_alu 0xf1ff
	v_cndmask_b32_e64 v7, -v12, v12, s0
	ds_bpermute_b32 v12, v23, v5
	v_cndmask_b32_e64 v10, -v10, v10, s0
	v_add_f32_e32 v3, v13, v15
	v_cndmask_b32_e64 v6, -v6, v6, s0
	v_sub_f32_e32 v13, v13, v15
	ds_bpermute_b32 v15, v23, v21
	v_cndmask_b32_e64 v5, -v5, v5, s0
	v_cndmask_b32_e64 v24, -v24, v24, s0
	;; [unrolled: 1-line block ×3, first 2 shown]
	s_wait_dscnt 0x6
	v_dual_add_f32 v7, v7, v16 :: v_dual_add_f32 v10, v10, v26
	v_cndmask_b32_e64 v16, -v21, v21, s0
	ds_bpermute_b32 v21, v23, v8
	v_cndmask_b32_e64 v26, -v27, v27, s0
	s_wait_dscnt 0x5
	v_add_f32_e32 v6, v6, v29
	ds_bpermute_b32 v27, v23, v4
	v_cndmask_b32_e64 v4, -v4, v4, s0
	s_wait_dscnt 0x3
	v_add_f32_e32 v5, v5, v12
	v_cndmask_b32_e64 v8, -v8, v8, s0
	v_add_f32_e32 v31, v9, v11
	v_sub_f32_e32 v9, v9, v11
	v_add_f32_e32 v11, v24, v25
	s_wait_dscnt 0x2
	v_dual_add_f32 v12, v16, v15 :: v_dual_add_f32 v15, v26, v28
	ds_bpermute_b32 v16, v23, v13
	v_xor_b32_e32 v26, 2, v22
	ds_bpermute_b32 v24, v23, v3
	ds_bpermute_b32 v25, v23, v2
	v_cndmask_b32_e64 v13, -v13, v13, s0
	v_cndmask_b32_e64 v3, -v3, v3, s0
	v_cmp_gt_i32_e64 s1, 32, v26
	v_cndmask_b32_e64 v2, -v2, v2, s0
	s_wait_dscnt 0x4
	v_add_f32_e32 v8, v8, v21
	ds_bpermute_b32 v28, v23, v31
	s_wait_alu 0xf1ff
	v_cndmask_b32_e64 v26, v22, v26, s1
	s_wait_dscnt 0x4
	s_delay_alu instid0(VALU_DEP_1)
	v_dual_add_f32 v4, v4, v27 :: v_dual_lshlrev_b32 v21, 2, v26
	s_wait_dscnt 0x3
	v_add_f32_e32 v13, v13, v16
	ds_bpermute_b32 v16, v21, v10
	s_wait_dscnt 0x2
	v_add_f32_e32 v2, v2, v25
	v_cndmask_b32_e64 v25, -v31, v31, s0
	ds_bpermute_b32 v31, v21, v6
	v_add_f32_e32 v3, v3, v24
	ds_bpermute_b32 v24, v23, v14
	v_cndmask_b32_e64 v14, -v14, v14, s0
	v_dual_add_f32 v1, v1, v30 :: v_dual_and_b32 v30, 2, v0
	ds_bpermute_b32 v23, v23, v9
	v_cndmask_b32_e64 v9, -v9, v9, s0
	s_wait_dscnt 0x4
	v_add_f32_e32 v25, v25, v28
	v_cmp_eq_u32_e64 s0, 0, v30
	s_wait_alu 0xf1ff
	s_delay_alu instid0(VALU_DEP_1) | instskip(SKIP_2) | instid1(VALU_DEP_2)
	v_cndmask_b32_e64 v10, -v10, v10, s0
	v_cndmask_b32_e64 v6, -v6, v6, s0
	s_wait_dscnt 0x3
	v_add_f32_e32 v10, v10, v16
	ds_bpermute_b32 v27, v21, v5
	ds_bpermute_b32 v28, v21, v12
	v_cndmask_b32_e64 v12, -v12, v12, s0
	ds_bpermute_b32 v26, v21, v7
	v_cndmask_b32_e64 v5, -v5, v5, s0
	s_wait_dscnt 0x3
	v_add_f32_e32 v9, v9, v23
	ds_bpermute_b32 v23, v21, v8
	v_add_f32_e32 v6, v6, v31
	ds_bpermute_b32 v16, v21, v3
	v_cndmask_b32_e64 v8, -v8, v8, s0
	v_cndmask_b32_e64 v7, -v7, v7, s0
	;; [unrolled: 1-line block ×3, first 2 shown]
	ds_bpermute_b32 v29, v21, v11
	v_add_f32_e32 v14, v14, v24
	ds_bpermute_b32 v24, v21, v2
	v_cndmask_b32_e64 v2, -v2, v2, s0
	v_cndmask_b32_e64 v11, -v11, v11, s0
	ds_bpermute_b32 v32, v21, v1
	v_cndmask_b32_e64 v1, -v1, v1, s0
	s_wait_dscnt 0x7
	v_add_f32_e32 v5, v5, v27
	v_xor_b32_e32 v27, 4, v22
	s_wait_dscnt 0x5
	v_dual_add_f32 v12, v12, v28 :: v_dual_add_f32 v7, v7, v26
	ds_bpermute_b32 v28, v21, v4
	v_cndmask_b32_e64 v4, -v4, v4, s0
	v_cmp_gt_i32_e64 s1, 32, v27
	s_wait_dscnt 0x4
	v_dual_add_f32 v8, v8, v23 :: v_dual_add_f32 v3, v3, v16
	ds_bpermute_b32 v30, v21, v15
	v_cndmask_b32_e64 v15, -v15, v15, s0
	s_wait_alu 0xf1ff
	v_cndmask_b32_e64 v23, v22, v27, s1
	v_and_b32_e32 v27, 4, v0
	s_wait_dscnt 0x3
	v_dual_add_f32 v11, v11, v29 :: v_dual_add_f32 v2, v2, v24
	s_delay_alu instid0(VALU_DEP_3)
	v_lshlrev_b32_e32 v16, 2, v23
	ds_bpermute_b32 v26, v21, v13
	v_cndmask_b32_e64 v13, -v13, v13, s0
	v_cmp_eq_u32_e64 s1, 0, v27
	s_wait_dscnt 0x2
	v_add_f32_e32 v4, v4, v28
	ds_bpermute_b32 v28, v16, v6
	s_wait_alu 0xf1ff
	v_cndmask_b32_e64 v6, -v6, v6, s1
	ds_bpermute_b32 v31, v16, v11
	v_cndmask_b32_e64 v11, -v11, v11, s1
	s_wait_dscnt 0x2
	v_add_f32_e32 v13, v13, v26
	ds_bpermute_b32 v26, v16, v12
	v_cndmask_b32_e64 v12, -v12, v12, s1
	s_wait_dscnt 0x2
	v_add_f32_e32 v6, v6, v28
	s_wait_dscnt 0x0
	s_delay_alu instid0(VALU_DEP_2)
	v_add_f32_e32 v12, v12, v26
	ds_bpermute_b32 v29, v21, v25
	v_cndmask_b32_e64 v23, -v25, v25, s0
	ds_bpermute_b32 v25, v21, v14
	ds_bpermute_b32 v21, v21, v9
	v_cndmask_b32_e64 v14, -v14, v14, s0
	v_cndmask_b32_e64 v9, -v9, v9, s0
	ds_bpermute_b32 v26, v16, v4
	v_cndmask_b32_e64 v4, -v4, v4, s1
	s_wait_dscnt 0x3
	v_add_f32_e32 v23, v23, v29
	s_wait_dscnt 0x2
	v_add_f32_e32 v14, v14, v25
	ds_bpermute_b32 v24, v16, v5
	v_cndmask_b32_e64 v5, -v5, v5, s1
	s_wait_dscnt 0x1
	v_add_f32_e32 v4, v4, v26
	ds_bpermute_b32 v28, v16, v14
	v_cndmask_b32_e64 v14, -v14, v14, s1
	v_add_f32_e32 v9, v9, v21
	ds_bpermute_b32 v21, v16, v8
	v_cndmask_b32_e64 v8, -v8, v8, s1
	;; [unrolled: 3-line block ×4, first 2 shown]
	s_wait_dscnt 0x4
	v_add_f32_e32 v5, v5, v24
	v_xor_b32_e32 v24, 8, v22
	s_wait_dscnt 0x3
	v_add_f32_e32 v14, v14, v28
	s_delay_alu instid0(VALU_DEP_2)
	v_cmp_gt_i32_e64 s0, 32, v24
	s_wait_dscnt 0x2
	v_add_f32_e32 v8, v8, v21
	ds_bpermute_b32 v29, v16, v1
	v_cndmask_b32_e64 v1, -v1, v1, s1
	s_wait_dscnt 0x2
	v_add_f32_e32 v10, v10, v32
	s_wait_alu 0xf1ff
	v_cndmask_b32_e64 v24, v22, v24, s0
	ds_bpermute_b32 v27, v16, v15
	v_cndmask_b32_e64 v15, -v15, v15, s1
	v_lshlrev_b32_e32 v21, 2, v24
	v_and_b32_e32 v24, 8, v0
	v_and_b32_e32 v0, 16, v0
	ds_bpermute_b32 v32, v21, v12
	v_cmp_eq_u32_e64 s0, 0, v24
	ds_bpermute_b32 v24, v21, v6
	s_wait_alu 0xf1ff
	v_cndmask_b32_e64 v12, -v12, v12, s0
	s_wait_dscnt 0x4
	v_add_f32_e32 v7, v7, v30
	ds_bpermute_b32 v30, v16, v2
	v_cndmask_b32_e64 v2, -v2, v2, s1
	v_cndmask_b32_e64 v6, -v6, v6, s0
	s_wait_dscnt 0x3
	v_add_f32_e32 v15, v15, v27
	ds_bpermute_b32 v27, v16, v23
	v_cndmask_b32_e64 v23, -v23, v23, s1
	s_wait_dscnt 0x3
	v_add_f32_e32 v12, v12, v32
	s_wait_dscnt 0x2
	v_add_f32_e32 v6, v6, v24
	;; [unrolled: 2-line block ×3, first 2 shown]
	ds_bpermute_b32 v25, v16, v3
	ds_bpermute_b32 v30, v21, v10
	v_cndmask_b32_e64 v10, -v10, v10, s0
	v_add_f32_e32 v11, v11, v31
	ds_bpermute_b32 v31, v16, v13
	ds_bpermute_b32 v16, v16, v9
	;; [unrolled: 1-line block ×3, first 2 shown]
	v_cndmask_b32_e64 v9, -v9, v9, s1
	v_cndmask_b32_e64 v2, -v2, v2, s0
	v_add_f32_e32 v1, v1, v29
	v_cndmask_b32_e64 v3, -v3, v3, s1
	v_cndmask_b32_e64 v13, -v13, v13, s1
	s_wait_dscnt 0x3
	v_dual_add_f32 v23, v23, v27 :: v_dual_add_f32 v10, v10, v30
	v_xor_b32_e32 v30, 16, v22
	s_wait_dscnt 0x1
	v_add_f32_e32 v9, v9, v16
	ds_bpermute_b32 v16, v21, v15
	s_wait_dscnt 0x1
	v_add_f32_e32 v28, v2, v28
	ds_bpermute_b32 v26, v21, v1
	v_cndmask_b32_e64 v15, -v15, v15, s0
	v_cndmask_b32_e64 v1, -v1, v1, s0
	v_add_f32_e32 v3, v3, v25
	v_cmp_gt_i32_e64 s1, 32, v30
	v_cndmask_b32_e64 v2, -v4, v4, s0
	s_wait_dscnt 0x0
	v_dual_add_f32 v15, v15, v16 :: v_dual_add_f32 v16, v1, v26
	ds_bpermute_b32 v26, v21, v14
	s_wait_alu 0xf1ff
	v_cndmask_b32_e64 v1, v22, v30, s1
	s_delay_alu instid0(VALU_DEP_1)
	v_dual_add_f32 v13, v13, v31 :: v_dual_lshlrev_b32 v22, 2, v1
	ds_bpermute_b32 v1, v21, v4
	v_cndmask_b32_e64 v4, -v14, v14, s0
	ds_bpermute_b32 v14, v22, v10
	s_wait_dscnt 0x2
	v_add_f32_e32 v26, v4, v26
	ds_bpermute_b32 v25, v21, v7
	ds_bpermute_b32 v27, v21, v8
	v_cndmask_b32_e64 v7, -v7, v7, s0
	ds_bpermute_b32 v29, v21, v11
	v_cndmask_b32_e64 v8, -v8, v8, s0
	;; [unrolled: 2-line block ×3, first 2 shown]
	ds_bpermute_b32 v32, v22, v26
	s_wait_dscnt 0x4
	v_add_f32_e32 v7, v7, v25
	ds_bpermute_b32 v25, v21, v3
	s_wait_dscnt 0x4
	v_add_f32_e32 v8, v8, v27
	ds_bpermute_b32 v31, v21, v5
	v_cndmask_b32_e64 v3, -v3, v3, s0
	v_cndmask_b32_e64 v5, -v5, v5, s0
	s_wait_dscnt 0x4
	v_add_f32_e32 v11, v11, v29
	ds_bpermute_b32 v29, v21, v13
	v_cndmask_b32_e64 v13, -v13, v13, s0
	ds_bpermute_b32 v21, v21, v9
	v_cndmask_b32_e64 v9, -v9, v9, s0
	s_wait_dscnt 0x3
	v_add_f32_e32 v25, v3, v25
	v_cndmask_b32_e64 v3, -v23, v23, s0
	v_cmp_eq_u32_e64 s0, 0, v0
	s_wait_dscnt 0x2
	v_add_f32_e32 v5, v5, v31
	s_delay_alu instid0(VALU_DEP_3)
	v_dual_add_f32 v31, v2, v1 :: v_dual_add_f32 v24, v3, v24
	s_wait_alu 0xf1ff
	v_cndmask_b32_e64 v2, -v10, v10, s0
	ds_bpermute_b32 v23, v22, v5
	ds_bpermute_b32 v10, v22, v6
	v_cndmask_b32_e64 v3, -v5, v5, s0
	v_cndmask_b32_e64 v6, -v6, v6, s0
	v_add_f32_e32 v2, v2, v14
	ds_bpermute_b32 v27, v22, v7
	v_cndmask_b32_e64 v0, -v7, v7, s0
	v_cndmask_b32_e64 v4, -v12, v12, s0
	s_wait_dscnt 0x1
	v_dual_add_f32 v14, v6, v10 :: v_dual_add_f32 v3, v3, v23
	v_cndmask_b32_e64 v23, -v28, v28, s0
	ds_bpermute_b32 v7, v22, v11
	s_wait_dscnt 0x1
	v_add_f32_e32 v0, v0, v27
	ds_bpermute_b32 v27, v22, v28
	v_add_f32_e32 v13, v13, v29
	ds_bpermute_b32 v29, v22, v12
	v_cndmask_b32_e64 v1, -v11, v11, s0
	ds_bpermute_b32 v11, v22, v16
	ds_bpermute_b32 v12, v22, v8
	v_cndmask_b32_e64 v8, -v8, v8, s0
	v_cndmask_b32_e64 v10, -v24, v24, s0
	s_wait_dscnt 0x2
	v_add_f32_e32 v4, v4, v29
	ds_bpermute_b32 v30, v22, v15
	v_cndmask_b32_e64 v5, -v15, v15, s0
	v_cndmask_b32_e64 v15, -v16, v16, s0
	s_wait_dscnt 0x1
	v_dual_add_f32 v9, v9, v21 :: v_dual_add_f32 v16, v8, v12
	ds_bpermute_b32 v21, v22, v25
	v_add_f32_e32 v15, v15, v11
	v_cndmask_b32_e64 v11, -v26, v26, s0
	ds_bpermute_b32 v33, v22, v9
	v_add_f32_e32 v26, v11, v32
	ds_bpermute_b32 v29, v22, v31
	v_cndmask_b32_e64 v8, -v31, v31, s0
	v_add_f32_e32 v1, v1, v7
	ds_bpermute_b32 v7, v22, v13
	s_wait_dscnt 0x4
	v_add_f32_e32 v5, v5, v30
	ds_bpermute_b32 v30, v22, v24
	v_cndmask_b32_e64 v22, -v25, v25, s0
	s_wait_dscnt 0x4
	s_delay_alu instid0(VALU_DEP_1) | instskip(SKIP_1) | instid1(VALU_DEP_2)
	v_dual_add_f32 v21, v22, v21 :: v_dual_add_f32 v22, v23, v27
	v_cndmask_b32_e64 v6, -v13, v13, s0
	v_add_f32_e32 v12, v22, v26
	s_wait_dscnt 0x2
	v_add_f32_e32 v24, v8, v29
	v_add_f32_e32 v8, v2, v14
	s_wait_dscnt 0x1
	v_dual_add_f32 v23, v6, v7 :: v_dual_add_f32 v6, v0, v4
	v_cndmask_b32_e64 v9, -v9, v9, s0
	s_mul_u64 s[0:1], s[10:11], s[12:13]
	s_wait_dscnt 0x0
	v_dual_add_f32 v25, v10, v30 :: v_dual_add_f32 v10, v16, v24
	v_add_f32_e32 v7, v1, v5
	v_add_f32_e32 v27, v9, v33
	;; [unrolled: 1-line block ×3, first 2 shown]
	s_delay_alu instid0(VALU_DEP_4)
	v_add_f32_e32 v11, v21, v25
	s_wait_alu 0xfffe
	s_lshl_b64 s[0:1], s[0:1], 2
	v_add_f32_e32 v13, v23, v27
	s_wait_alu 0xfffe
	s_add_nc_u64 s[0:1], s[6:7], s[0:1]
	s_and_saveexec_b32 s6, vcc_lo
	s_cbranch_execz .LBB6_10
; %bb.9:
	v_dual_add_f32 v28, v9, v13 :: v_dual_add_f32 v29, v8, v12
	v_dual_add_f32 v32, v7, v11 :: v_dual_add_f32 v33, v6, v10
	s_wait_kmcnt 0x0
	s_delay_alu instid0(VALU_DEP_2) | instskip(NEXT) | instid1(VALU_DEP_2)
	v_dual_mul_f32 v31, s5, v28 :: v_dual_mul_f32 v30, s5, v29
	v_dual_mul_f32 v29, s5, v32 :: v_dual_mul_f32 v28, s5, v33
	global_store_b128 v17, v[28:31], s[0:1]
.LBB6_10:
	s_or_b32 exec_lo, exec_lo, s6
	v_dual_sub_f32 v0, v0, v4 :: v_dual_sub_f32 v1, v1, v5
	v_dual_sub_f32 v2, v2, v14 :: v_dual_sub_f32 v3, v3, v15
	;; [unrolled: 1-line block ×4, first 2 shown]
	s_and_saveexec_b32 s6, s2
	s_cbranch_execnz .LBB6_14
; %bb.11:
	s_or_b32 exec_lo, exec_lo, s6
	s_and_saveexec_b32 s2, s3
	s_cbranch_execnz .LBB6_15
.LBB6_12:
	s_or_b32 exec_lo, exec_lo, s2
	s_and_saveexec_b32 s2, s4
	s_cbranch_execnz .LBB6_16
.LBB6_13:
	s_endpgm
.LBB6_14:
	s_delay_alu instid0(VALU_DEP_2) | instskip(NEXT) | instid1(VALU_DEP_2)
	v_dual_add_f32 v16, v0, v4 :: v_dual_add_f32 v17, v1, v5
	v_dual_add_f32 v23, v2, v14 :: v_dual_add_f32 v24, v3, v15
	s_wait_kmcnt 0x0
	s_delay_alu instid0(VALU_DEP_2) | instskip(NEXT) | instid1(VALU_DEP_2)
	v_dual_mul_f32 v21, s5, v16 :: v_dual_mul_f32 v22, s5, v17
	v_dual_mul_f32 v23, s5, v23 :: v_dual_mul_f32 v24, s5, v24
	global_store_b128 v18, v[21:24], s[0:1]
	s_or_b32 exec_lo, exec_lo, s6
	s_and_saveexec_b32 s2, s3
	s_cbranch_execz .LBB6_12
.LBB6_15:
	v_dual_sub_f32 v6, v6, v10 :: v_dual_sub_f32 v7, v7, v11
	v_dual_sub_f32 v8, v8, v12 :: v_dual_sub_f32 v9, v9, v13
	s_wait_kmcnt 0x0
	s_delay_alu instid0(VALU_DEP_2) | instskip(NEXT) | instid1(VALU_DEP_2)
	v_dual_mul_f32 v6, s5, v6 :: v_dual_mul_f32 v7, s5, v7
	v_dual_mul_f32 v8, s5, v8 :: v_dual_mul_f32 v9, s5, v9
	global_store_b128 v19, v[6:9], s[0:1]
	s_or_b32 exec_lo, exec_lo, s2
	s_and_saveexec_b32 s2, s4
	s_cbranch_execz .LBB6_13
.LBB6_16:
	v_dual_sub_f32 v0, v0, v4 :: v_dual_sub_f32 v1, v1, v5
	v_dual_sub_f32 v2, v2, v14 :: v_dual_sub_f32 v3, v3, v15
	s_wait_kmcnt 0x0
	s_delay_alu instid0(VALU_DEP_2) | instskip(NEXT) | instid1(VALU_DEP_2)
	v_dual_mul_f32 v0, s5, v0 :: v_dual_mul_f32 v1, s5, v1
	v_dual_mul_f32 v2, s5, v2 :: v_dual_mul_f32 v3, s5, v3
	global_store_b128 v20, v[0:3], s[0:1]
	s_endpgm
	.section	.rodata,"a",@progbits
	.p2align	6, 0x0
	.amdhsa_kernel _Z30fast_hadamard_transform_kernelI37fast_hadamard_transform_kernel_traitsILi32ELi9EfEEv18HadamardParamsBase
		.amdhsa_group_segment_fixed_size 0
		.amdhsa_private_segment_fixed_size 0
		.amdhsa_kernarg_size 312
		.amdhsa_user_sgpr_count 2
		.amdhsa_user_sgpr_dispatch_ptr 0
		.amdhsa_user_sgpr_queue_ptr 0
		.amdhsa_user_sgpr_kernarg_segment_ptr 1
		.amdhsa_user_sgpr_dispatch_id 0
		.amdhsa_user_sgpr_private_segment_size 0
		.amdhsa_wavefront_size32 1
		.amdhsa_uses_dynamic_stack 0
		.amdhsa_enable_private_segment 0
		.amdhsa_system_sgpr_workgroup_id_x 1
		.amdhsa_system_sgpr_workgroup_id_y 0
		.amdhsa_system_sgpr_workgroup_id_z 0
		.amdhsa_system_sgpr_workgroup_info 0
		.amdhsa_system_vgpr_workitem_id 0
		.amdhsa_next_free_vgpr 34
		.amdhsa_next_free_sgpr 15
		.amdhsa_reserve_vcc 1
		.amdhsa_float_round_mode_32 0
		.amdhsa_float_round_mode_16_64 0
		.amdhsa_float_denorm_mode_32 3
		.amdhsa_float_denorm_mode_16_64 3
		.amdhsa_fp16_overflow 0
		.amdhsa_workgroup_processor_mode 1
		.amdhsa_memory_ordered 1
		.amdhsa_forward_progress 1
		.amdhsa_inst_pref_size 23
		.amdhsa_round_robin_scheduling 0
		.amdhsa_exception_fp_ieee_invalid_op 0
		.amdhsa_exception_fp_denorm_src 0
		.amdhsa_exception_fp_ieee_div_zero 0
		.amdhsa_exception_fp_ieee_overflow 0
		.amdhsa_exception_fp_ieee_underflow 0
		.amdhsa_exception_fp_ieee_inexact 0
		.amdhsa_exception_int_div_zero 0
	.end_amdhsa_kernel
	.section	.text._Z30fast_hadamard_transform_kernelI37fast_hadamard_transform_kernel_traitsILi32ELi9EfEEv18HadamardParamsBase,"axG",@progbits,_Z30fast_hadamard_transform_kernelI37fast_hadamard_transform_kernel_traitsILi32ELi9EfEEv18HadamardParamsBase,comdat
.Lfunc_end6:
	.size	_Z30fast_hadamard_transform_kernelI37fast_hadamard_transform_kernel_traitsILi32ELi9EfEEv18HadamardParamsBase, .Lfunc_end6-_Z30fast_hadamard_transform_kernelI37fast_hadamard_transform_kernel_traitsILi32ELi9EfEEv18HadamardParamsBase
                                        ; -- End function
	.set _Z30fast_hadamard_transform_kernelI37fast_hadamard_transform_kernel_traitsILi32ELi9EfEEv18HadamardParamsBase.num_vgpr, 34
	.set _Z30fast_hadamard_transform_kernelI37fast_hadamard_transform_kernel_traitsILi32ELi9EfEEv18HadamardParamsBase.num_agpr, 0
	.set _Z30fast_hadamard_transform_kernelI37fast_hadamard_transform_kernel_traitsILi32ELi9EfEEv18HadamardParamsBase.numbered_sgpr, 15
	.set _Z30fast_hadamard_transform_kernelI37fast_hadamard_transform_kernel_traitsILi32ELi9EfEEv18HadamardParamsBase.num_named_barrier, 0
	.set _Z30fast_hadamard_transform_kernelI37fast_hadamard_transform_kernel_traitsILi32ELi9EfEEv18HadamardParamsBase.private_seg_size, 0
	.set _Z30fast_hadamard_transform_kernelI37fast_hadamard_transform_kernel_traitsILi32ELi9EfEEv18HadamardParamsBase.uses_vcc, 1
	.set _Z30fast_hadamard_transform_kernelI37fast_hadamard_transform_kernel_traitsILi32ELi9EfEEv18HadamardParamsBase.uses_flat_scratch, 0
	.set _Z30fast_hadamard_transform_kernelI37fast_hadamard_transform_kernel_traitsILi32ELi9EfEEv18HadamardParamsBase.has_dyn_sized_stack, 0
	.set _Z30fast_hadamard_transform_kernelI37fast_hadamard_transform_kernel_traitsILi32ELi9EfEEv18HadamardParamsBase.has_recursion, 0
	.set _Z30fast_hadamard_transform_kernelI37fast_hadamard_transform_kernel_traitsILi32ELi9EfEEv18HadamardParamsBase.has_indirect_call, 0
	.section	.AMDGPU.csdata,"",@progbits
; Kernel info:
; codeLenInByte = 2900
; TotalNumSgprs: 17
; NumVgprs: 34
; ScratchSize: 0
; MemoryBound: 0
; FloatMode: 240
; IeeeMode: 1
; LDSByteSize: 0 bytes/workgroup (compile time only)
; SGPRBlocks: 0
; VGPRBlocks: 4
; NumSGPRsForWavesPerEU: 17
; NumVGPRsForWavesPerEU: 34
; Occupancy: 16
; WaveLimiterHint : 0
; COMPUTE_PGM_RSRC2:SCRATCH_EN: 0
; COMPUTE_PGM_RSRC2:USER_SGPR: 2
; COMPUTE_PGM_RSRC2:TRAP_HANDLER: 0
; COMPUTE_PGM_RSRC2:TGID_X_EN: 1
; COMPUTE_PGM_RSRC2:TGID_Y_EN: 0
; COMPUTE_PGM_RSRC2:TGID_Z_EN: 0
; COMPUTE_PGM_RSRC2:TIDIG_COMP_CNT: 0
	.section	.text._Z30fast_hadamard_transform_kernelI37fast_hadamard_transform_kernel_traitsILi128ELi10EfEEv18HadamardParamsBase,"axG",@progbits,_Z30fast_hadamard_transform_kernelI37fast_hadamard_transform_kernel_traitsILi128ELi10EfEEv18HadamardParamsBase,comdat
	.protected	_Z30fast_hadamard_transform_kernelI37fast_hadamard_transform_kernel_traitsILi128ELi10EfEEv18HadamardParamsBase ; -- Begin function _Z30fast_hadamard_transform_kernelI37fast_hadamard_transform_kernel_traitsILi128ELi10EfEEv18HadamardParamsBase
	.globl	_Z30fast_hadamard_transform_kernelI37fast_hadamard_transform_kernel_traitsILi128ELi10EfEEv18HadamardParamsBase
	.p2align	8
	.type	_Z30fast_hadamard_transform_kernelI37fast_hadamard_transform_kernel_traitsILi128ELi10EfEEv18HadamardParamsBase,@function
_Z30fast_hadamard_transform_kernelI37fast_hadamard_transform_kernel_traitsILi128ELi10EfEEv18HadamardParamsBase: ; @_Z30fast_hadamard_transform_kernelI37fast_hadamard_transform_kernel_traitsILi128ELi10EfEEv18HadamardParamsBase
; %bb.0:
	s_clause 0x3
	s_load_b128 s[8:11], s[0:1], 0x10
	s_load_b32 s2, s[0:1], 0x4
	s_load_b128 s[12:15], s[0:1], 0x28
	s_load_b32 s3, s[0:1], 0x44
	v_dual_mov_b32 v1, 0 :: v_dual_lshlrev_b32 v2, 2, v0
	s_mov_b32 s16, ttmp9
	s_ashr_i32 s17, ttmp9, 31
	v_dual_mov_b32 v5, 0 :: v_dual_mov_b32 v6, 0
	v_dual_mov_b32 v8, 0 :: v_dual_lshlrev_b32 v9, 4, v0
	v_mov_b32_e32 v7, 0
	s_wait_kmcnt 0x0
	s_mul_u64 s[4:5], s[8:9], s[16:17]
	v_cmp_gt_u32_e32 vcc_lo, s2, v2
	s_lshl_b64 s[4:5], s[4:5], 2
	s_delay_alu instid0(SALU_CYCLE_1)
	s_add_nc_u64 s[4:5], s[12:13], s[4:5]
	s_and_saveexec_b32 s6, vcc_lo
	s_cbranch_execz .LBB7_2
; %bb.1:
	global_load_b128 v[5:8], v9, s[4:5]
.LBB7_2:
	s_or_b32 exec_lo, exec_lo, s6
	s_and_b32 s3, 0xffff, s3
	s_wait_alu 0xfffe
	v_dual_mov_b32 v3, 0 :: v_dual_add_nc_u32 v4, s3, v0
	s_delay_alu instid0(VALU_DEP_1) | instskip(SKIP_2) | instid1(VALU_DEP_3)
	v_dual_mov_b32 v2, 0 :: v_dual_lshlrev_b32 v11, 2, v4
	v_lshlrev_b32_e32 v10, 4, v4
	v_mov_b32_e32 v4, 0
	v_cmp_gt_u32_e64 s2, s2, v11
	s_and_saveexec_b32 s3, s2
	s_cbranch_execz .LBB7_4
; %bb.3:
	global_load_b128 v[1:4], v10, s[4:5]
.LBB7_4:
	s_wait_alu 0xfffe
	s_or_b32 exec_lo, exec_lo, s3
	v_mbcnt_lo_u32_b32 v11, -1, 0
	s_wait_loadcnt 0x0
	v_add_f32_e32 v12, v5, v6
	v_sub_f32_e32 v5, v5, v6
	v_add_f32_e32 v6, v1, v2
	v_sub_f32_e32 v1, v1, v2
	v_xor_b32_e32 v13, 1, v11
	v_add_f32_e32 v2, v7, v8
	v_sub_f32_e32 v7, v7, v8
	v_add_f32_e32 v8, v3, v4
	v_sub_f32_e32 v3, v3, v4
	v_cmp_gt_i32_e64 s3, 32, v13
	v_dual_add_f32 v15, v12, v2 :: v_dual_and_b32 v4, 1, v0
	v_and_b32_e32 v14, 2, v0
	s_wait_alu 0xf1ff
	s_delay_alu instid0(VALU_DEP_3) | instskip(NEXT) | instid1(VALU_DEP_3)
	v_cndmask_b32_e64 v13, v11, v13, s3
	v_cmp_eq_u32_e64 s3, 0, v4
	v_xor_b32_e32 v4, 4, v11
	s_barrier_signal -1
	s_barrier_wait -1
	v_dual_sub_f32 v2, v12, v2 :: v_dual_lshlrev_b32 v13, 2, v13
	v_add_f32_e32 v12, v6, v8
	v_sub_f32_e32 v6, v6, v8
	v_cmp_gt_i32_e64 s5, 32, v4
	ds_bpermute_b32 v16, v13, v15
	s_wait_alu 0xf1ff
	v_cndmask_b32_e64 v15, -v15, v15, s3
	v_add_f32_e32 v8, v5, v7
	v_sub_f32_e32 v5, v5, v7
	v_add_f32_e32 v7, v1, v3
	v_sub_f32_e32 v1, v1, v3
	v_xor_b32_e32 v3, 2, v11
	ds_bpermute_b32 v18, v13, v2
	ds_bpermute_b32 v19, v13, v5
	;; [unrolled: 1-line block ×3, first 2 shown]
	v_cndmask_b32_e64 v7, -v7, v7, s3
	v_cmp_gt_i32_e64 s4, 32, v3
	ds_bpermute_b32 v20, v13, v12
	v_cndmask_b32_e64 v5, -v5, v5, s3
	v_cndmask_b32_e64 v2, -v2, v2, s3
	;; [unrolled: 1-line block ×3, first 2 shown]
	v_cndmask_b32_e64 v3, v11, v3, s4
	v_cmp_eq_u32_e64 s4, 0, v14
	v_cndmask_b32_e64 v4, v11, v4, s5
	s_wait_dscnt 0x0
	global_inv scope:SCOPE_SE
	v_dual_add_f32 v3, v15, v16 :: v_dual_lshlrev_b32 v22, 2, v3
	ds_bpermute_b32 v17, v13, v8
	v_cndmask_b32_e64 v8, -v8, v8, s3
	ds_bpermute_b32 v16, v13, v1
	ds_bpermute_b32 v15, v13, v6
	v_cndmask_b32_e64 v1, -v1, v1, s3
	v_dual_add_f32 v2, v2, v18 :: v_dual_add_f32 v7, v7, v21
	ds_bpermute_b32 v23, v22, v3
	s_wait_alu 0xf1ff
	v_cndmask_b32_e64 v3, -v3, v3, s4
	v_add_f32_e32 v12, v12, v20
	v_lshlrev_b32_e32 v4, 2, v4
	ds_bpermute_b32 v20, v22, v7
	v_cndmask_b32_e64 v6, -v6, v6, s3
	v_cndmask_b32_e64 v7, -v7, v7, s4
	v_add_f32_e32 v5, v5, v19
	ds_bpermute_b32 v18, v22, v5
	s_wait_dscnt 0x5
	v_add_f32_e32 v8, v8, v17
	v_cndmask_b32_e64 v5, -v5, v5, s4
	s_wait_dscnt 0x4
	v_add_f32_e32 v1, v1, v16
	ds_bpermute_b32 v17, v22, v2
	s_wait_dscnt 0x4
	v_add_f32_e32 v6, v6, v15
	ds_bpermute_b32 v14, v22, v8
	v_cndmask_b32_e64 v8, -v8, v8, s4
	s_wait_dscnt 0x4
	v_add_f32_e32 v3, v3, v23
	ds_bpermute_b32 v19, v22, v12
	v_cndmask_b32_e64 v2, -v2, v2, s4
	ds_bpermute_b32 v16, v22, v1
	v_cndmask_b32_e64 v1, -v1, v1, s4
	;; [unrolled: 2-line block ×3, first 2 shown]
	v_xor_b32_e32 v23, 8, v11
	s_wait_dscnt 0x6
	v_add_f32_e32 v7, v7, v20
	s_wait_dscnt 0x5
	v_add_f32_e32 v5, v5, v18
	ds_bpermute_b32 v15, v22, v6
	v_cndmask_b32_e64 v6, -v6, v6, s4
	v_cmp_gt_i32_e64 s6, 32, v23
	s_wait_dscnt 0x5
	v_add_f32_e32 v2, v2, v17
	s_wait_dscnt 0x4
	v_add_f32_e32 v8, v8, v14
	v_and_b32_e32 v14, 4, v0
	s_wait_dscnt 0x2
	v_dual_add_f32 v12, v12, v19 :: v_dual_add_f32 v1, v1, v16
	s_delay_alu instid0(VALU_DEP_2) | instskip(SKIP_2) | instid1(VALU_DEP_2)
	v_cmp_eq_u32_e64 s5, 0, v14
	v_cndmask_b32_e64 v14, v11, v23, s6
	s_wait_alu 0xf1ff
	v_cndmask_b32_e64 v3, -v3, v3, s5
	s_wait_dscnt 0x0
	s_delay_alu instid0(VALU_DEP_1)
	v_dual_add_f32 v6, v6, v15 :: v_dual_add_f32 v3, v3, v21
	ds_bpermute_b32 v17, v4, v8
	ds_bpermute_b32 v19, v4, v5
	v_cndmask_b32_e64 v8, -v8, v8, s5
	ds_bpermute_b32 v15, v4, v7
	ds_bpermute_b32 v18, v4, v2
	;; [unrolled: 1-line block ×3, first 2 shown]
	v_cndmask_b32_e64 v5, -v5, v5, s5
	v_cndmask_b32_e64 v7, -v7, v7, s5
	v_lshlrev_b32_e32 v14, 2, v14
	v_cndmask_b32_e64 v2, -v2, v2, s5
	s_wait_dscnt 0x4
	v_dual_add_f32 v8, v8, v17 :: v_dual_and_b32 v17, 8, v0
	ds_bpermute_b32 v20, v4, v12
	ds_bpermute_b32 v4, v4, v1
	s_wait_dscnt 0x5
	v_add_f32_e32 v5, v5, v19
	v_cndmask_b32_e64 v1, -v1, v1, s5
	s_wait_dscnt 0x4
	v_add_f32_e32 v7, v7, v15
	v_cndmask_b32_e64 v12, -v12, v12, s5
	ds_bpermute_b32 v21, v14, v3
	ds_bpermute_b32 v15, v14, v7
	s_wait_dscnt 0x2
	v_add_f32_e32 v1, v1, v4
	v_cndmask_b32_e64 v6, -v6, v6, s5
	v_cmp_eq_u32_e64 s5, 0, v17
	ds_bpermute_b32 v17, v14, v5
	s_wait_alu 0xf1ff
	v_cndmask_b32_e64 v3, -v3, v3, s5
	v_add_f32_e32 v2, v2, v18
	ds_bpermute_b32 v18, v14, v8
	v_cndmask_b32_e64 v4, -v8, v8, s5
	v_xor_b32_e32 v8, 16, v11
	v_cndmask_b32_e64 v5, -v5, v5, s5
	v_add_f32_e32 v12, v12, v20
	v_cndmask_b32_e64 v7, -v7, v7, s5
	v_add_f32_e32 v6, v6, v16
	v_cmp_gt_i32_e64 s6, 32, v8
	s_wait_dscnt 0x3
	v_add_f32_e32 v3, v3, v21
	ds_bpermute_b32 v19, v14, v2
	s_wait_dscnt 0x3
	v_add_f32_e32 v7, v7, v15
	ds_bpermute_b32 v16, v14, v6
	s_wait_alu 0xf1ff
	v_cndmask_b32_e64 v8, v11, v8, s6
	v_and_b32_e32 v21, 16, v0
	s_wait_dscnt 0x3
	v_add_f32_e32 v5, v5, v17
	ds_bpermute_b32 v20, v14, v12
	ds_bpermute_b32 v14, v14, v1
	v_lshlrev_b32_e32 v8, 2, v8
	v_cndmask_b32_e64 v11, -v12, v12, s5
	v_cndmask_b32_e64 v2, -v2, v2, s5
	s_wait_dscnt 0x4
	v_add_f32_e32 v4, v4, v18
	v_cndmask_b32_e64 v6, -v6, v6, s5
	ds_bpermute_b32 v12, v8, v3
	v_cndmask_b32_e64 v1, -v1, v1, s5
	v_cmp_eq_u32_e64 s5, 0, v21
	ds_bpermute_b32 v17, v8, v4
	s_wait_dscnt 0x4
	v_add_f32_e32 v6, v6, v16
	s_wait_dscnt 0x2
	v_dual_add_f32 v11, v11, v20 :: v_dual_add_f32 v14, v1, v14
	s_wait_alu 0xf1ff
	v_cndmask_b32_e64 v1, -v3, v3, s5
	v_add_f32_e32 v2, v2, v19
	v_cndmask_b32_e64 v3, -v4, v4, s5
	s_wait_dscnt 0x1
	s_delay_alu instid0(VALU_DEP_3)
	v_add_f32_e32 v1, v1, v12
	ds_bpermute_b32 v18, v8, v2
	v_cndmask_b32_e64 v4, -v2, v2, s5
	s_wait_dscnt 0x1
	v_add_f32_e32 v2, v3, v17
	v_and_b32_e32 v12, 3, v0
	v_lshrrev_b32_e32 v17, 2, v0
	s_wait_dscnt 0x0
	v_add_f32_e32 v3, v4, v18
	ds_bpermute_b32 v19, v8, v5
	ds_bpermute_b32 v20, v8, v11
	v_cndmask_b32_e64 v5, -v5, v5, s5
	v_cndmask_b32_e64 v11, -v11, v11, s5
	ds_bpermute_b32 v15, v8, v7
	ds_bpermute_b32 v16, v8, v6
	v_cndmask_b32_e64 v7, -v7, v7, s5
	v_cndmask_b32_e64 v18, -v6, v6, s5
	s_wait_dscnt 0x2
	v_dual_add_f32 v4, v5, v19 :: v_dual_add_f32 v5, v11, v20
	ds_bpermute_b32 v8, v8, v14
	v_lshrrev_b32_e32 v11, 5, v0
	v_cndmask_b32_e64 v14, -v14, v14, s5
	s_wait_dscnt 0x1
	v_dual_add_f32 v6, v7, v15 :: v_dual_add_f32 v7, v18, v16
	s_delay_alu instid0(VALU_DEP_3) | instskip(SKIP_3) | instid1(VALU_DEP_3)
	v_xor_b32_e32 v0, v11, v0
	v_lshl_or_b32 v11, v12, 5, v17
	s_wait_dscnt 0x0
	v_add_f32_e32 v8, v14, v8
	v_lshl_add_u32 v14, v0, 4, 0
	s_delay_alu instid0(VALU_DEP_3)
	v_xor_b32_e32 v0, v11, v12
	ds_store_b128 v14, v[1:4]
	ds_store_b128 v14, v[5:8] offset:2048
	v_lshl_add_u32 v8, v0, 4, 0
	s_wait_loadcnt_dscnt 0x0
	s_barrier_signal -1
	s_barrier_wait -1
	global_inv scope:SCOPE_SE
	ds_load_b128 v[0:3], v8
	ds_load_b128 v[4:7], v8 offset:2048
	s_wait_loadcnt_dscnt 0x0
	s_barrier_signal -1
	s_barrier_wait -1
	global_inv scope:SCOPE_SE
	ds_bpermute_b32 v11, v13, v0
	ds_bpermute_b32 v12, v13, v1
	;; [unrolled: 1-line block ×8, first 2 shown]
	v_cndmask_b32_e64 v1, -v1, v1, s3
	v_cndmask_b32_e64 v5, -v5, v5, s3
	;; [unrolled: 1-line block ×8, first 2 shown]
	s_load_b32 s3, s[0:1], 0x20
	s_mul_u64 s[0:1], s[10:11], s[16:17]
	s_delay_alu instid0(SALU_CYCLE_1)
	s_lshl_b64 s[0:1], s[0:1], 2
	s_wait_dscnt 0x6
	v_add_f32_e32 v1, v1, v12
	s_add_nc_u64 s[0:1], s[14:15], s[0:1]
	s_wait_dscnt 0x4
	v_add_f32_e32 v3, v3, v16
	s_wait_dscnt 0x2
	v_add_f32_e32 v5, v5, v18
	ds_bpermute_b32 v12, v22, v1
	s_wait_dscnt 0x1
	v_dual_add_f32 v7, v7, v13 :: v_dual_add_f32 v6, v6, v19
	v_cndmask_b32_e64 v1, -v1, v1, s4
	v_add_f32_e32 v0, v0, v11
	ds_bpermute_b32 v13, v22, v3
	ds_bpermute_b32 v19, v22, v7
	v_cndmask_b32_e64 v7, -v7, v7, s4
	v_add_f32_e32 v4, v4, v17
	ds_bpermute_b32 v17, v22, v5
	v_cndmask_b32_e64 v5, -v5, v5, s4
	v_add_f32_e32 v2, v2, v15
	ds_bpermute_b32 v18, v22, v6
	v_cndmask_b32_e64 v3, -v3, v3, s4
	v_cndmask_b32_e64 v6, -v6, v6, s4
	s_wait_dscnt 0x4
	v_add_f32_e32 v1, v1, v12
	ds_bpermute_b32 v11, v22, v0
	v_cndmask_b32_e64 v0, -v0, v0, s4
	s_wait_dscnt 0x4
	v_add_f32_e32 v3, v3, v13
	s_wait_dscnt 0x3
	v_add_f32_e32 v7, v7, v19
	ds_bpermute_b32 v16, v22, v4
	v_cndmask_b32_e64 v4, -v4, v4, s4
	s_wait_dscnt 0x3
	v_add_f32_e32 v5, v5, v17
	ds_bpermute_b32 v15, v22, v2
	v_cndmask_b32_e64 v2, -v2, v2, s4
	s_wait_dscnt 0x3
	v_add_f32_e32 v6, v6, v18
	s_wait_dscnt 0x2
	v_add_f32_e32 v0, v0, v11
	s_wait_dscnt 0x1
	v_add_f32_e32 v4, v4, v16
	s_wait_dscnt 0x0
	v_add_f32_e32 v2, v2, v15
	ds_store_b128 v8, v[0:3]
	ds_store_b128 v8, v[4:7] offset:2048
	s_wait_loadcnt_dscnt 0x0
	s_barrier_signal -1
	s_barrier_wait -1
	global_inv scope:SCOPE_SE
	ds_load_b128 v[0:3], v14
	ds_load_b128 v[4:7], v14 offset:2048
	s_and_saveexec_b32 s4, vcc_lo
	s_cbranch_execnz .LBB7_7
; %bb.5:
	s_wait_alu 0xfffe
	s_or_b32 exec_lo, exec_lo, s4
	s_and_saveexec_b32 s4, s2
	s_cbranch_execnz .LBB7_8
.LBB7_6:
	s_endpgm
.LBB7_7:
	s_wait_dscnt 0x0
	v_dual_add_f32 v8, v3, v7 :: v_dual_add_f32 v11, v2, v6
	v_dual_add_f32 v12, v1, v5 :: v_dual_add_f32 v15, v0, v4
	s_wait_kmcnt 0x0
	s_delay_alu instid0(VALU_DEP_2) | instskip(NEXT) | instid1(VALU_DEP_2)
	v_dual_mul_f32 v14, s3, v8 :: v_dual_mul_f32 v13, s3, v11
	v_dual_mul_f32 v12, s3, v12 :: v_dual_mul_f32 v11, s3, v15
	global_store_b128 v9, v[11:14], s[0:1]
	s_wait_alu 0xfffe
	s_or_b32 exec_lo, exec_lo, s4
	s_and_saveexec_b32 s4, s2
	s_cbranch_execz .LBB7_6
.LBB7_8:
	s_wait_dscnt 0x0
	v_dual_sub_f32 v0, v0, v4 :: v_dual_sub_f32 v1, v1, v5
	v_dual_sub_f32 v2, v2, v6 :: v_dual_sub_f32 v3, v3, v7
	s_wait_kmcnt 0x0
	s_delay_alu instid0(VALU_DEP_2) | instskip(NEXT) | instid1(VALU_DEP_2)
	v_dual_mul_f32 v0, s3, v0 :: v_dual_mul_f32 v1, s3, v1
	v_dual_mul_f32 v2, s3, v2 :: v_dual_mul_f32 v3, s3, v3
	global_store_b128 v10, v[0:3], s[0:1]
	s_endpgm
	.section	.rodata,"a",@progbits
	.p2align	6, 0x0
	.amdhsa_kernel _Z30fast_hadamard_transform_kernelI37fast_hadamard_transform_kernel_traitsILi128ELi10EfEEv18HadamardParamsBase
		.amdhsa_group_segment_fixed_size 0
		.amdhsa_private_segment_fixed_size 0
		.amdhsa_kernarg_size 312
		.amdhsa_user_sgpr_count 2
		.amdhsa_user_sgpr_dispatch_ptr 0
		.amdhsa_user_sgpr_queue_ptr 0
		.amdhsa_user_sgpr_kernarg_segment_ptr 1
		.amdhsa_user_sgpr_dispatch_id 0
		.amdhsa_user_sgpr_private_segment_size 0
		.amdhsa_wavefront_size32 1
		.amdhsa_uses_dynamic_stack 0
		.amdhsa_enable_private_segment 0
		.amdhsa_system_sgpr_workgroup_id_x 1
		.amdhsa_system_sgpr_workgroup_id_y 0
		.amdhsa_system_sgpr_workgroup_id_z 0
		.amdhsa_system_sgpr_workgroup_info 0
		.amdhsa_system_vgpr_workitem_id 0
		.amdhsa_next_free_vgpr 24
		.amdhsa_next_free_sgpr 18
		.amdhsa_reserve_vcc 1
		.amdhsa_float_round_mode_32 0
		.amdhsa_float_round_mode_16_64 0
		.amdhsa_float_denorm_mode_32 3
		.amdhsa_float_denorm_mode_16_64 3
		.amdhsa_fp16_overflow 0
		.amdhsa_workgroup_processor_mode 1
		.amdhsa_memory_ordered 1
		.amdhsa_forward_progress 1
		.amdhsa_inst_pref_size 17
		.amdhsa_round_robin_scheduling 0
		.amdhsa_exception_fp_ieee_invalid_op 0
		.amdhsa_exception_fp_denorm_src 0
		.amdhsa_exception_fp_ieee_div_zero 0
		.amdhsa_exception_fp_ieee_overflow 0
		.amdhsa_exception_fp_ieee_underflow 0
		.amdhsa_exception_fp_ieee_inexact 0
		.amdhsa_exception_int_div_zero 0
	.end_amdhsa_kernel
	.section	.text._Z30fast_hadamard_transform_kernelI37fast_hadamard_transform_kernel_traitsILi128ELi10EfEEv18HadamardParamsBase,"axG",@progbits,_Z30fast_hadamard_transform_kernelI37fast_hadamard_transform_kernel_traitsILi128ELi10EfEEv18HadamardParamsBase,comdat
.Lfunc_end7:
	.size	_Z30fast_hadamard_transform_kernelI37fast_hadamard_transform_kernel_traitsILi128ELi10EfEEv18HadamardParamsBase, .Lfunc_end7-_Z30fast_hadamard_transform_kernelI37fast_hadamard_transform_kernel_traitsILi128ELi10EfEEv18HadamardParamsBase
                                        ; -- End function
	.set _Z30fast_hadamard_transform_kernelI37fast_hadamard_transform_kernel_traitsILi128ELi10EfEEv18HadamardParamsBase.num_vgpr, 24
	.set _Z30fast_hadamard_transform_kernelI37fast_hadamard_transform_kernel_traitsILi128ELi10EfEEv18HadamardParamsBase.num_agpr, 0
	.set _Z30fast_hadamard_transform_kernelI37fast_hadamard_transform_kernel_traitsILi128ELi10EfEEv18HadamardParamsBase.numbered_sgpr, 18
	.set _Z30fast_hadamard_transform_kernelI37fast_hadamard_transform_kernel_traitsILi128ELi10EfEEv18HadamardParamsBase.num_named_barrier, 0
	.set _Z30fast_hadamard_transform_kernelI37fast_hadamard_transform_kernel_traitsILi128ELi10EfEEv18HadamardParamsBase.private_seg_size, 0
	.set _Z30fast_hadamard_transform_kernelI37fast_hadamard_transform_kernel_traitsILi128ELi10EfEEv18HadamardParamsBase.uses_vcc, 1
	.set _Z30fast_hadamard_transform_kernelI37fast_hadamard_transform_kernel_traitsILi128ELi10EfEEv18HadamardParamsBase.uses_flat_scratch, 0
	.set _Z30fast_hadamard_transform_kernelI37fast_hadamard_transform_kernel_traitsILi128ELi10EfEEv18HadamardParamsBase.has_dyn_sized_stack, 0
	.set _Z30fast_hadamard_transform_kernelI37fast_hadamard_transform_kernel_traitsILi128ELi10EfEEv18HadamardParamsBase.has_recursion, 0
	.set _Z30fast_hadamard_transform_kernelI37fast_hadamard_transform_kernel_traitsILi128ELi10EfEEv18HadamardParamsBase.has_indirect_call, 0
	.section	.AMDGPU.csdata,"",@progbits
; Kernel info:
; codeLenInByte = 2164
; TotalNumSgprs: 20
; NumVgprs: 24
; ScratchSize: 0
; MemoryBound: 0
; FloatMode: 240
; IeeeMode: 1
; LDSByteSize: 0 bytes/workgroup (compile time only)
; SGPRBlocks: 0
; VGPRBlocks: 2
; NumSGPRsForWavesPerEU: 20
; NumVGPRsForWavesPerEU: 24
; Occupancy: 16
; WaveLimiterHint : 0
; COMPUTE_PGM_RSRC2:SCRATCH_EN: 0
; COMPUTE_PGM_RSRC2:USER_SGPR: 2
; COMPUTE_PGM_RSRC2:TRAP_HANDLER: 0
; COMPUTE_PGM_RSRC2:TGID_X_EN: 1
; COMPUTE_PGM_RSRC2:TGID_Y_EN: 0
; COMPUTE_PGM_RSRC2:TGID_Z_EN: 0
; COMPUTE_PGM_RSRC2:TIDIG_COMP_CNT: 0
	.section	.text._Z30fast_hadamard_transform_kernelI37fast_hadamard_transform_kernel_traitsILi256ELi11EfEEv18HadamardParamsBase,"axG",@progbits,_Z30fast_hadamard_transform_kernelI37fast_hadamard_transform_kernel_traitsILi256ELi11EfEEv18HadamardParamsBase,comdat
	.protected	_Z30fast_hadamard_transform_kernelI37fast_hadamard_transform_kernel_traitsILi256ELi11EfEEv18HadamardParamsBase ; -- Begin function _Z30fast_hadamard_transform_kernelI37fast_hadamard_transform_kernel_traitsILi256ELi11EfEEv18HadamardParamsBase
	.globl	_Z30fast_hadamard_transform_kernelI37fast_hadamard_transform_kernel_traitsILi256ELi11EfEEv18HadamardParamsBase
	.p2align	8
	.type	_Z30fast_hadamard_transform_kernelI37fast_hadamard_transform_kernel_traitsILi256ELi11EfEEv18HadamardParamsBase,@function
_Z30fast_hadamard_transform_kernelI37fast_hadamard_transform_kernel_traitsILi256ELi11EfEEv18HadamardParamsBase: ; @_Z30fast_hadamard_transform_kernelI37fast_hadamard_transform_kernel_traitsILi256ELi11EfEEv18HadamardParamsBase
; %bb.0:
	s_clause 0x3
	s_load_b128 s[8:11], s[0:1], 0x10
	s_load_b32 s2, s[0:1], 0x4
	s_load_b128 s[12:15], s[0:1], 0x28
	s_load_b32 s3, s[0:1], 0x44
	v_dual_mov_b32 v1, 0 :: v_dual_lshlrev_b32 v2, 2, v0
	s_mov_b32 s16, ttmp9
	s_ashr_i32 s17, ttmp9, 31
	v_dual_mov_b32 v5, 0 :: v_dual_mov_b32 v6, 0
	v_dual_mov_b32 v8, 0 :: v_dual_lshlrev_b32 v9, 4, v0
	v_mov_b32_e32 v7, 0
	s_wait_kmcnt 0x0
	s_mul_u64 s[4:5], s[8:9], s[16:17]
	v_cmp_gt_u32_e32 vcc_lo, s2, v2
	s_lshl_b64 s[4:5], s[4:5], 2
	s_delay_alu instid0(SALU_CYCLE_1)
	s_add_nc_u64 s[4:5], s[12:13], s[4:5]
	s_and_saveexec_b32 s6, vcc_lo
	s_cbranch_execz .LBB8_2
; %bb.1:
	global_load_b128 v[5:8], v9, s[4:5]
.LBB8_2:
	s_or_b32 exec_lo, exec_lo, s6
	s_and_b32 s3, 0xffff, s3
	s_wait_alu 0xfffe
	v_dual_mov_b32 v3, 0 :: v_dual_add_nc_u32 v4, s3, v0
	s_delay_alu instid0(VALU_DEP_1) | instskip(SKIP_2) | instid1(VALU_DEP_3)
	v_dual_mov_b32 v2, 0 :: v_dual_lshlrev_b32 v11, 2, v4
	v_lshlrev_b32_e32 v10, 4, v4
	v_mov_b32_e32 v4, 0
	v_cmp_gt_u32_e64 s2, s2, v11
	s_and_saveexec_b32 s3, s2
	s_cbranch_execz .LBB8_4
; %bb.3:
	global_load_b128 v[1:4], v10, s[4:5]
.LBB8_4:
	s_wait_alu 0xfffe
	s_or_b32 exec_lo, exec_lo, s3
	v_mbcnt_lo_u32_b32 v11, -1, 0
	s_wait_loadcnt 0x0
	v_add_f32_e32 v12, v5, v6
	v_sub_f32_e32 v5, v5, v6
	v_add_f32_e32 v6, v1, v2
	v_sub_f32_e32 v1, v1, v2
	v_xor_b32_e32 v13, 1, v11
	v_add_f32_e32 v2, v7, v8
	v_sub_f32_e32 v7, v7, v8
	v_add_f32_e32 v8, v3, v4
	v_sub_f32_e32 v3, v3, v4
	v_cmp_gt_i32_e64 s3, 32, v13
	v_dual_add_f32 v15, v12, v2 :: v_dual_and_b32 v4, 1, v0
	v_and_b32_e32 v14, 2, v0
	s_wait_alu 0xf1ff
	s_delay_alu instid0(VALU_DEP_3) | instskip(NEXT) | instid1(VALU_DEP_3)
	v_cndmask_b32_e64 v13, v11, v13, s3
	v_cmp_eq_u32_e64 s3, 0, v4
	v_xor_b32_e32 v4, 4, v11
	s_barrier_signal -1
	s_barrier_wait -1
	v_dual_sub_f32 v2, v12, v2 :: v_dual_lshlrev_b32 v13, 2, v13
	v_add_f32_e32 v12, v6, v8
	v_sub_f32_e32 v6, v6, v8
	v_cmp_gt_i32_e64 s5, 32, v4
	ds_bpermute_b32 v16, v13, v15
	s_wait_alu 0xf1ff
	v_cndmask_b32_e64 v15, -v15, v15, s3
	v_add_f32_e32 v8, v5, v7
	v_sub_f32_e32 v5, v5, v7
	v_add_f32_e32 v7, v1, v3
	v_sub_f32_e32 v1, v1, v3
	v_xor_b32_e32 v3, 2, v11
	ds_bpermute_b32 v18, v13, v2
	ds_bpermute_b32 v19, v13, v5
	;; [unrolled: 1-line block ×3, first 2 shown]
	v_cndmask_b32_e64 v7, -v7, v7, s3
	v_cmp_gt_i32_e64 s4, 32, v3
	ds_bpermute_b32 v20, v13, v12
	v_cndmask_b32_e64 v5, -v5, v5, s3
	v_cndmask_b32_e64 v2, -v2, v2, s3
	;; [unrolled: 1-line block ×3, first 2 shown]
	v_cndmask_b32_e64 v3, v11, v3, s4
	v_cmp_eq_u32_e64 s4, 0, v14
	v_cndmask_b32_e64 v4, v11, v4, s5
	s_wait_dscnt 0x0
	global_inv scope:SCOPE_SE
	v_dual_add_f32 v3, v15, v16 :: v_dual_lshlrev_b32 v22, 2, v3
	ds_bpermute_b32 v17, v13, v8
	ds_bpermute_b32 v16, v13, v1
	v_cndmask_b32_e64 v8, -v8, v8, s3
	ds_bpermute_b32 v15, v13, v6
	v_cndmask_b32_e64 v1, -v1, v1, s3
	v_cndmask_b32_e64 v6, -v6, v6, s3
	v_add_f32_e32 v7, v7, v21
	ds_bpermute_b32 v23, v22, v3
	v_add_f32_e32 v2, v2, v18
	s_wait_alu 0xf1ff
	v_cndmask_b32_e64 v3, -v3, v3, s4
	v_add_f32_e32 v12, v12, v20
	ds_bpermute_b32 v20, v22, v7
	v_cndmask_b32_e64 v7, -v7, v7, s4
	v_add_f32_e32 v5, v5, v19
	ds_bpermute_b32 v18, v22, v5
	v_cndmask_b32_e64 v5, -v5, v5, s4
	s_wait_dscnt 0x4
	v_dual_add_f32 v8, v8, v17 :: v_dual_add_f32 v1, v1, v16
	ds_bpermute_b32 v17, v22, v2
	s_wait_dscnt 0x4
	v_dual_add_f32 v6, v6, v15 :: v_dual_lshlrev_b32 v15, 2, v4
	ds_bpermute_b32 v14, v22, v8
	ds_bpermute_b32 v16, v22, v1
	s_wait_dscnt 0x5
	v_add_f32_e32 v3, v3, v23
	ds_bpermute_b32 v19, v22, v12
	v_cndmask_b32_e64 v8, -v8, v8, s4
	ds_bpermute_b32 v4, v22, v6
	v_cndmask_b32_e64 v12, -v12, v12, s4
	;; [unrolled: 2-line block ×3, first 2 shown]
	v_cndmask_b32_e64 v2, -v2, v2, s4
	v_xor_b32_e32 v23, 8, v11
	v_cndmask_b32_e64 v6, -v6, v6, s4
	s_wait_dscnt 0x7
	v_add_f32_e32 v7, v7, v20
	s_wait_dscnt 0x6
	v_add_f32_e32 v5, v5, v18
	v_cmp_gt_i32_e64 s6, 32, v23
	s_wait_dscnt 0x5
	v_add_f32_e32 v2, v2, v17
	s_wait_dscnt 0x4
	v_add_f32_e32 v8, v8, v14
	v_and_b32_e32 v14, 4, v0
	s_wait_dscnt 0x2
	v_dual_add_f32 v1, v1, v16 :: v_dual_add_f32 v12, v12, v19
	ds_bpermute_b32 v19, v15, v5
	ds_bpermute_b32 v17, v15, v8
	v_cmp_eq_u32_e64 s5, 0, v14
	ds_bpermute_b32 v18, v15, v2
	ds_bpermute_b32 v20, v15, v12
	;; [unrolled: 1-line block ×3, first 2 shown]
	s_wait_alu 0xf1ff
	v_cndmask_b32_e64 v3, -v3, v3, s5
	v_cndmask_b32_e64 v5, -v5, v5, s5
	s_wait_dscnt 0x6
	v_add_f32_e32 v4, v6, v4
	v_cndmask_b32_e64 v6, v11, v23, s6
	v_cndmask_b32_e64 v8, -v8, v8, s5
	s_wait_dscnt 0x5
	v_add_f32_e32 v3, v3, v21
	ds_bpermute_b32 v21, v15, v1
	v_cndmask_b32_e64 v1, -v1, v1, s5
	v_lshlrev_b32_e32 v6, 2, v6
	v_cndmask_b32_e64 v2, -v2, v2, s5
	v_cndmask_b32_e64 v12, -v12, v12, s5
	;; [unrolled: 1-line block ×3, first 2 shown]
	s_wait_dscnt 0x5
	v_add_f32_e32 v5, v5, v19
	ds_bpermute_b32 v16, v15, v4
	s_wait_dscnt 0x5
	v_dual_add_f32 v8, v8, v17 :: v_dual_and_b32 v17, 8, v0
	s_wait_dscnt 0x2
	v_dual_add_f32 v12, v12, v20 :: v_dual_add_f32 v7, v7, v14
	v_xor_b32_e32 v14, 16, v11
	v_cndmask_b32_e64 v4, -v4, v4, s5
	v_cmp_eq_u32_e64 s6, 0, v17
	s_delay_alu instid0(VALU_DEP_3)
	v_cmp_gt_i32_e64 s7, 32, v14
	s_wait_dscnt 0x1
	v_add_f32_e32 v1, v1, v21
	ds_bpermute_b32 v23, v6, v3
	s_wait_alu 0xf1ff
	v_cndmask_b32_e64 v3, -v3, v3, s6
	v_add_f32_e32 v2, v2, v18
	v_cndmask_b32_e64 v11, v11, v14, s7
	ds_bpermute_b32 v18, v6, v8
	ds_bpermute_b32 v17, v6, v5
	;; [unrolled: 1-line block ×3, first 2 shown]
	s_wait_dscnt 0x4
	v_dual_add_f32 v4, v4, v16 :: v_dual_lshlrev_b32 v11, 2, v11
	ds_bpermute_b32 v16, v6, v7
	v_cndmask_b32_e64 v8, -v8, v8, s6
	v_cndmask_b32_e64 v5, -v5, v5, s6
	ds_bpermute_b32 v21, v6, v4
	v_cndmask_b32_e64 v12, -v12, v12, s6
	v_cndmask_b32_e64 v7, -v7, v7, s6
	;; [unrolled: 1-line block ×3, first 2 shown]
	s_wait_dscnt 0x5
	v_add_f32_e32 v3, v3, v23
	ds_bpermute_b32 v19, v6, v2
	ds_bpermute_b32 v6, v6, v1
	v_cndmask_b32_e64 v2, -v2, v2, s6
	v_cndmask_b32_e64 v1, -v1, v1, s6
	ds_bpermute_b32 v14, v11, v3
	s_wait_dscnt 0x6
	v_dual_add_f32 v8, v8, v18 :: v_dual_add_f32 v5, v5, v17
	v_and_b32_e32 v23, 16, v0
	s_wait_dscnt 0x4
	v_add_f32_e32 v7, v7, v16
	ds_bpermute_b32 v17, v11, v8
	s_wait_dscnt 0x4
	v_add_f32_e32 v16, v4, v21
	v_cmp_eq_u32_e64 s6, 0, v23
	ds_bpermute_b32 v21, v11, v7
	ds_bpermute_b32 v23, v11, v16
	s_wait_alu 0xf1ff
	v_cndmask_b32_e64 v7, -v7, v7, s6
	v_cndmask_b32_e64 v16, -v16, v16, s6
	s_wait_dscnt 0x5
	v_add_f32_e32 v2, v2, v19
	s_wait_dscnt 0x4
	v_add_f32_e32 v6, v1, v6
	v_cndmask_b32_e64 v1, -v3, v3, s6
	v_add_f32_e32 v12, v12, v20
	ds_bpermute_b32 v19, v11, v5
	ds_bpermute_b32 v18, v11, v2
	v_cndmask_b32_e64 v3, -v8, v8, s6
	v_cndmask_b32_e64 v4, -v2, v2, s6
	s_wait_dscnt 0x5
	v_add_f32_e32 v1, v1, v14
	ds_bpermute_b32 v20, v11, v12
	v_cndmask_b32_e64 v5, -v5, v5, s6
	v_cndmask_b32_e64 v8, -v12, v12, s6
	s_wait_dscnt 0x5
	v_add_f32_e32 v2, v3, v17
	v_and_b32_e32 v12, 7, v0
	v_lshrrev_b32_e32 v14, 3, v0
	s_wait_dscnt 0x1
	v_dual_add_f32 v3, v4, v18 :: v_dual_add_f32 v4, v5, v19
	s_wait_dscnt 0x0
	v_add_f32_e32 v5, v8, v20
	ds_bpermute_b32 v11, v11, v6
	v_lshrrev_b32_e32 v8, 5, v0
	v_cndmask_b32_e64 v17, -v6, v6, s6
	v_dual_add_f32 v6, v7, v21 :: v_dual_add_f32 v7, v16, v23
	v_lshl_or_b32 v14, v12, 5, v14
	s_delay_alu instid0(VALU_DEP_4) | instskip(SKIP_2) | instid1(VALU_DEP_2)
	v_xor_b32_e32 v0, v8, v0
	s_wait_dscnt 0x0
	v_add_f32_e32 v8, v17, v11
	v_lshl_add_u32 v11, v0, 4, 0
	v_xor_b32_e32 v0, v14, v12
	ds_store_b128 v11, v[1:4]
	ds_store_b128 v11, v[5:8] offset:4096
	v_lshl_add_u32 v8, v0, 4, 0
	s_wait_loadcnt_dscnt 0x0
	s_barrier_signal -1
	s_barrier_wait -1
	global_inv scope:SCOPE_SE
	ds_load_b128 v[0:3], v8
	ds_load_b128 v[4:7], v8 offset:4096
	s_wait_loadcnt_dscnt 0x0
	s_barrier_signal -1
	s_barrier_wait -1
	global_inv scope:SCOPE_SE
	ds_bpermute_b32 v14, v13, v1
	ds_bpermute_b32 v17, v13, v3
	;; [unrolled: 1-line block ×8, first 2 shown]
	v_cndmask_b32_e64 v1, -v1, v1, s3
	v_cndmask_b32_e64 v3, -v3, v3, s3
	;; [unrolled: 1-line block ×8, first 2 shown]
	s_load_b32 s3, s[0:1], 0x20
	s_mul_u64 s[0:1], s[10:11], s[16:17]
	s_delay_alu instid0(SALU_CYCLE_1)
	s_lshl_b64 s[0:1], s[0:1], 2
	s_wait_dscnt 0x7
	v_add_f32_e32 v1, v1, v14
	s_wait_dscnt 0x5
	v_dual_add_f32 v3, v3, v17 :: v_dual_add_f32 v0, v0, v12
	s_wait_dscnt 0x4
	v_add_f32_e32 v5, v5, v19
	s_add_nc_u64 s[0:1], s[14:15], s[0:1]
	ds_bpermute_b32 v14, v22, v1
	v_cndmask_b32_e64 v1, -v1, v1, s4
	s_wait_dscnt 0x1
	v_add_f32_e32 v7, v7, v13
	ds_bpermute_b32 v13, v22, v3
	v_cndmask_b32_e64 v3, -v3, v3, s4
	v_add_f32_e32 v4, v4, v18
	ds_bpermute_b32 v18, v22, v5
	v_add_f32_e32 v2, v2, v16
	v_cndmask_b32_e64 v5, -v5, v5, s4
	v_add_f32_e32 v6, v6, v20
	ds_bpermute_b32 v12, v22, v0
	ds_bpermute_b32 v20, v22, v7
	v_cndmask_b32_e64 v0, -v0, v0, s4
	v_cndmask_b32_e64 v7, -v7, v7, s4
	s_wait_dscnt 0x4
	v_add_f32_e32 v1, v1, v14
	ds_bpermute_b32 v16, v22, v2
	v_cndmask_b32_e64 v2, -v2, v2, s4
	s_wait_dscnt 0x4
	v_add_f32_e32 v3, v3, v13
	ds_bpermute_b32 v17, v22, v4
	ds_bpermute_b32 v14, v15, v1
	s_wait_dscnt 0x5
	v_add_f32_e32 v5, v5, v18
	ds_bpermute_b32 v19, v22, v6
	ds_bpermute_b32 v13, v15, v3
	v_cndmask_b32_e64 v4, -v4, v4, s4
	v_cndmask_b32_e64 v6, -v6, v6, s4
	ds_bpermute_b32 v18, v15, v5
	v_cndmask_b32_e64 v1, -v1, v1, s5
	s_wait_dscnt 0x7
	v_add_f32_e32 v0, v0, v12
	v_cndmask_b32_e64 v3, -v3, v3, s5
	v_cndmask_b32_e64 v5, -v5, v5, s5
	s_wait_dscnt 0x6
	v_add_f32_e32 v7, v7, v20
	s_wait_dscnt 0x5
	v_add_f32_e32 v2, v2, v16
	s_wait_dscnt 0x3
	v_dual_add_f32 v4, v4, v17 :: v_dual_add_f32 v1, v1, v14
	ds_bpermute_b32 v12, v15, v0
	s_wait_dscnt 0x2
	v_dual_add_f32 v6, v6, v19 :: v_dual_add_f32 v3, v3, v13
	ds_bpermute_b32 v16, v15, v2
	ds_bpermute_b32 v17, v15, v4
	s_wait_dscnt 0x3
	v_add_f32_e32 v5, v5, v18
	ds_bpermute_b32 v19, v15, v6
	ds_bpermute_b32 v15, v15, v7
	v_cndmask_b32_e64 v0, -v0, v0, s5
	v_cndmask_b32_e64 v2, -v2, v2, s5
	;; [unrolled: 1-line block ×5, first 2 shown]
	s_wait_dscnt 0x4
	v_add_f32_e32 v0, v0, v12
	s_wait_dscnt 0x3
	v_add_f32_e32 v2, v2, v16
	;; [unrolled: 2-line block ×5, first 2 shown]
	ds_store_b128 v8, v[0:3]
	ds_store_b128 v8, v[4:7] offset:4096
	s_wait_loadcnt_dscnt 0x0
	s_barrier_signal -1
	s_barrier_wait -1
	global_inv scope:SCOPE_SE
	ds_load_b128 v[0:3], v11
	ds_load_b128 v[4:7], v11 offset:4096
	s_and_saveexec_b32 s4, vcc_lo
	s_cbranch_execnz .LBB8_7
; %bb.5:
	s_wait_alu 0xfffe
	s_or_b32 exec_lo, exec_lo, s4
	s_and_saveexec_b32 s4, s2
	s_cbranch_execnz .LBB8_8
.LBB8_6:
	s_endpgm
.LBB8_7:
	s_wait_dscnt 0x0
	v_dual_add_f32 v8, v3, v7 :: v_dual_add_f32 v11, v2, v6
	v_dual_add_f32 v12, v1, v5 :: v_dual_add_f32 v15, v0, v4
	s_wait_kmcnt 0x0
	s_delay_alu instid0(VALU_DEP_2) | instskip(NEXT) | instid1(VALU_DEP_2)
	v_dual_mul_f32 v14, s3, v8 :: v_dual_mul_f32 v13, s3, v11
	v_dual_mul_f32 v12, s3, v12 :: v_dual_mul_f32 v11, s3, v15
	global_store_b128 v9, v[11:14], s[0:1]
	s_wait_alu 0xfffe
	s_or_b32 exec_lo, exec_lo, s4
	s_and_saveexec_b32 s4, s2
	s_cbranch_execz .LBB8_6
.LBB8_8:
	s_wait_dscnt 0x0
	v_dual_sub_f32 v0, v0, v4 :: v_dual_sub_f32 v1, v1, v5
	v_dual_sub_f32 v2, v2, v6 :: v_dual_sub_f32 v3, v3, v7
	s_wait_kmcnt 0x0
	s_delay_alu instid0(VALU_DEP_2) | instskip(NEXT) | instid1(VALU_DEP_2)
	v_dual_mul_f32 v0, s3, v0 :: v_dual_mul_f32 v1, s3, v1
	v_dual_mul_f32 v2, s3, v2 :: v_dual_mul_f32 v3, s3, v3
	global_store_b128 v10, v[0:3], s[0:1]
	s_endpgm
	.section	.rodata,"a",@progbits
	.p2align	6, 0x0
	.amdhsa_kernel _Z30fast_hadamard_transform_kernelI37fast_hadamard_transform_kernel_traitsILi256ELi11EfEEv18HadamardParamsBase
		.amdhsa_group_segment_fixed_size 0
		.amdhsa_private_segment_fixed_size 0
		.amdhsa_kernarg_size 312
		.amdhsa_user_sgpr_count 2
		.amdhsa_user_sgpr_dispatch_ptr 0
		.amdhsa_user_sgpr_queue_ptr 0
		.amdhsa_user_sgpr_kernarg_segment_ptr 1
		.amdhsa_user_sgpr_dispatch_id 0
		.amdhsa_user_sgpr_private_segment_size 0
		.amdhsa_wavefront_size32 1
		.amdhsa_uses_dynamic_stack 0
		.amdhsa_enable_private_segment 0
		.amdhsa_system_sgpr_workgroup_id_x 1
		.amdhsa_system_sgpr_workgroup_id_y 0
		.amdhsa_system_sgpr_workgroup_id_z 0
		.amdhsa_system_sgpr_workgroup_info 0
		.amdhsa_system_vgpr_workitem_id 0
		.amdhsa_next_free_vgpr 24
		.amdhsa_next_free_sgpr 18
		.amdhsa_reserve_vcc 1
		.amdhsa_float_round_mode_32 0
		.amdhsa_float_round_mode_16_64 0
		.amdhsa_float_denorm_mode_32 3
		.amdhsa_float_denorm_mode_16_64 3
		.amdhsa_fp16_overflow 0
		.amdhsa_workgroup_processor_mode 1
		.amdhsa_memory_ordered 1
		.amdhsa_forward_progress 1
		.amdhsa_inst_pref_size 19
		.amdhsa_round_robin_scheduling 0
		.amdhsa_exception_fp_ieee_invalid_op 0
		.amdhsa_exception_fp_denorm_src 0
		.amdhsa_exception_fp_ieee_div_zero 0
		.amdhsa_exception_fp_ieee_overflow 0
		.amdhsa_exception_fp_ieee_underflow 0
		.amdhsa_exception_fp_ieee_inexact 0
		.amdhsa_exception_int_div_zero 0
	.end_amdhsa_kernel
	.section	.text._Z30fast_hadamard_transform_kernelI37fast_hadamard_transform_kernel_traitsILi256ELi11EfEEv18HadamardParamsBase,"axG",@progbits,_Z30fast_hadamard_transform_kernelI37fast_hadamard_transform_kernel_traitsILi256ELi11EfEEv18HadamardParamsBase,comdat
.Lfunc_end8:
	.size	_Z30fast_hadamard_transform_kernelI37fast_hadamard_transform_kernel_traitsILi256ELi11EfEEv18HadamardParamsBase, .Lfunc_end8-_Z30fast_hadamard_transform_kernelI37fast_hadamard_transform_kernel_traitsILi256ELi11EfEEv18HadamardParamsBase
                                        ; -- End function
	.set _Z30fast_hadamard_transform_kernelI37fast_hadamard_transform_kernel_traitsILi256ELi11EfEEv18HadamardParamsBase.num_vgpr, 24
	.set _Z30fast_hadamard_transform_kernelI37fast_hadamard_transform_kernel_traitsILi256ELi11EfEEv18HadamardParamsBase.num_agpr, 0
	.set _Z30fast_hadamard_transform_kernelI37fast_hadamard_transform_kernel_traitsILi256ELi11EfEEv18HadamardParamsBase.numbered_sgpr, 18
	.set _Z30fast_hadamard_transform_kernelI37fast_hadamard_transform_kernel_traitsILi256ELi11EfEEv18HadamardParamsBase.num_named_barrier, 0
	.set _Z30fast_hadamard_transform_kernelI37fast_hadamard_transform_kernel_traitsILi256ELi11EfEEv18HadamardParamsBase.private_seg_size, 0
	.set _Z30fast_hadamard_transform_kernelI37fast_hadamard_transform_kernel_traitsILi256ELi11EfEEv18HadamardParamsBase.uses_vcc, 1
	.set _Z30fast_hadamard_transform_kernelI37fast_hadamard_transform_kernel_traitsILi256ELi11EfEEv18HadamardParamsBase.uses_flat_scratch, 0
	.set _Z30fast_hadamard_transform_kernelI37fast_hadamard_transform_kernel_traitsILi256ELi11EfEEv18HadamardParamsBase.has_dyn_sized_stack, 0
	.set _Z30fast_hadamard_transform_kernelI37fast_hadamard_transform_kernel_traitsILi256ELi11EfEEv18HadamardParamsBase.has_recursion, 0
	.set _Z30fast_hadamard_transform_kernelI37fast_hadamard_transform_kernel_traitsILi256ELi11EfEEv18HadamardParamsBase.has_indirect_call, 0
	.section	.AMDGPU.csdata,"",@progbits
; Kernel info:
; codeLenInByte = 2332
; TotalNumSgprs: 20
; NumVgprs: 24
; ScratchSize: 0
; MemoryBound: 0
; FloatMode: 240
; IeeeMode: 1
; LDSByteSize: 0 bytes/workgroup (compile time only)
; SGPRBlocks: 0
; VGPRBlocks: 2
; NumSGPRsForWavesPerEU: 20
; NumVGPRsForWavesPerEU: 24
; Occupancy: 16
; WaveLimiterHint : 0
; COMPUTE_PGM_RSRC2:SCRATCH_EN: 0
; COMPUTE_PGM_RSRC2:USER_SGPR: 2
; COMPUTE_PGM_RSRC2:TRAP_HANDLER: 0
; COMPUTE_PGM_RSRC2:TGID_X_EN: 1
; COMPUTE_PGM_RSRC2:TGID_Y_EN: 0
; COMPUTE_PGM_RSRC2:TGID_Z_EN: 0
; COMPUTE_PGM_RSRC2:TIDIG_COMP_CNT: 0
	.section	.text._Z30fast_hadamard_transform_kernelI37fast_hadamard_transform_kernel_traitsILi256ELi12EfEEv18HadamardParamsBase,"axG",@progbits,_Z30fast_hadamard_transform_kernelI37fast_hadamard_transform_kernel_traitsILi256ELi12EfEEv18HadamardParamsBase,comdat
	.protected	_Z30fast_hadamard_transform_kernelI37fast_hadamard_transform_kernel_traitsILi256ELi12EfEEv18HadamardParamsBase ; -- Begin function _Z30fast_hadamard_transform_kernelI37fast_hadamard_transform_kernel_traitsILi256ELi12EfEEv18HadamardParamsBase
	.globl	_Z30fast_hadamard_transform_kernelI37fast_hadamard_transform_kernel_traitsILi256ELi12EfEEv18HadamardParamsBase
	.p2align	8
	.type	_Z30fast_hadamard_transform_kernelI37fast_hadamard_transform_kernel_traitsILi256ELi12EfEEv18HadamardParamsBase,@function
_Z30fast_hadamard_transform_kernelI37fast_hadamard_transform_kernel_traitsILi256ELi12EfEEv18HadamardParamsBase: ; @_Z30fast_hadamard_transform_kernelI37fast_hadamard_transform_kernel_traitsILi256ELi12EfEEv18HadamardParamsBase
; %bb.0:
	s_clause 0x3
	s_load_b128 s[12:15], s[0:1], 0x10
	s_load_b32 s4, s[0:1], 0x4
	s_load_b128 s[8:11], s[0:1], 0x28
	s_load_b32 s2, s[0:1], 0x44
	v_dual_mov_b32 v1, 0 :: v_dual_lshlrev_b32 v2, 2, v0
	s_mov_b32 s16, ttmp9
	s_ashr_i32 s17, ttmp9, 31
	v_dual_mov_b32 v5, 0 :: v_dual_mov_b32 v6, 0
	v_dual_mov_b32 v8, 0 :: v_dual_lshlrev_b32 v17, 4, v0
	v_mov_b32_e32 v7, 0
	s_wait_kmcnt 0x0
	s_mul_u64 s[6:7], s[12:13], s[16:17]
	v_cmp_gt_u32_e32 vcc_lo, s4, v2
	s_lshl_b64 s[6:7], s[6:7], 2
	s_delay_alu instid0(SALU_CYCLE_1)
	s_add_nc_u64 s[6:7], s[8:9], s[6:7]
	s_and_saveexec_b32 s3, vcc_lo
	s_cbranch_execz .LBB9_2
; %bb.1:
	global_load_b128 v[5:8], v17, s[6:7]
.LBB9_2:
	s_or_b32 exec_lo, exec_lo, s3
	s_and_b32 s5, 0xffff, s2
	s_wait_alu 0xfffe
	v_dual_mov_b32 v2, 0 :: v_dual_add_nc_u32 v9, s5, v0
	s_delay_alu instid0(VALU_DEP_1) | instskip(SKIP_1) | instid1(VALU_DEP_2)
	v_dual_mov_b32 v3, 0 :: v_dual_lshlrev_b32 v4, 2, v9
	v_lshlrev_b32_e32 v18, 4, v9
	v_cmp_gt_u32_e64 s2, s4, v4
	v_mov_b32_e32 v4, 0
	s_and_saveexec_b32 s3, s2
	s_cbranch_execz .LBB9_4
; %bb.3:
	global_load_b128 v[1:4], v18, s[6:7]
.LBB9_4:
	s_or_b32 exec_lo, exec_lo, s3
	v_dual_mov_b32 v9, 0 :: v_dual_add_nc_u32 v10, s5, v9
	v_dual_mov_b32 v13, 0 :: v_dual_mov_b32 v16, 0
	v_mov_b32_e32 v15, 0
	s_delay_alu instid0(VALU_DEP_3) | instskip(SKIP_1) | instid1(VALU_DEP_2)
	v_dual_mov_b32 v14, 0 :: v_dual_lshlrev_b32 v11, 2, v10
	v_lshlrev_b32_e32 v19, 4, v10
	v_cmp_gt_u32_e64 s3, s4, v11
	s_and_saveexec_b32 s8, s3
	s_cbranch_execz .LBB9_6
; %bb.5:
	global_load_b128 v[13:16], v19, s[6:7]
.LBB9_6:
	s_or_b32 exec_lo, exec_lo, s8
	v_dual_mov_b32 v11, 0 :: v_dual_add_nc_u32 v12, s5, v10
	s_delay_alu instid0(VALU_DEP_1) | instskip(SKIP_2) | instid1(VALU_DEP_3)
	v_dual_mov_b32 v10, 0 :: v_dual_lshlrev_b32 v21, 2, v12
	v_lshlrev_b32_e32 v20, 4, v12
	v_mov_b32_e32 v12, 0
	v_cmp_gt_u32_e64 s4, s4, v21
	s_and_saveexec_b32 s5, s4
	s_cbranch_execz .LBB9_8
; %bb.7:
	global_load_b128 v[9:12], v20, s[6:7]
.LBB9_8:
	s_wait_alu 0xfffe
	s_or_b32 exec_lo, exec_lo, s5
	s_wait_loadcnt 0x0
	v_add_f32_e32 v21, v5, v6
	v_sub_f32_e32 v5, v5, v6
	v_add_f32_e32 v6, v1, v2
	v_sub_f32_e32 v2, v1, v2
	;; [unrolled: 2-line block ×3, first 2 shown]
	v_dual_add_f32 v14, v9, v10 :: v_dual_add_f32 v1, v7, v8
	v_sub_f32_e32 v7, v7, v8
	v_dual_add_f32 v8, v3, v4 :: v_dual_sub_f32 v9, v9, v10
	v_mbcnt_lo_u32_b32 v10, -1, 0
	v_sub_f32_e32 v3, v3, v4
	v_add_f32_e32 v4, v15, v16
	v_sub_f32_e32 v15, v15, v16
	v_add_f32_e32 v16, v11, v12
	v_xor_b32_e32 v23, 1, v10
	v_dual_sub_f32 v11, v11, v12 :: v_dual_add_f32 v12, v21, v1
	v_dual_sub_f32 v21, v21, v1 :: v_dual_add_f32 v24, v6, v8
	s_delay_alu instid0(VALU_DEP_3) | instskip(NEXT) | instid1(VALU_DEP_3)
	v_cmp_gt_i32_e64 s5, 32, v23
	v_dual_sub_f32 v6, v6, v8 :: v_dual_add_f32 v31, v9, v11
	s_barrier_signal -1
	s_wait_alu 0xf1ff
	s_delay_alu instid0(VALU_DEP_2) | instskip(SKIP_3) | instid1(VALU_DEP_4)
	v_cndmask_b32_e64 v23, v10, v23, s5
	v_add_f32_e32 v8, v22, v4
	v_sub_f32_e32 v4, v22, v4
	v_add_f32_e32 v22, v14, v16
	v_dual_sub_f32 v14, v14, v16 :: v_dual_lshlrev_b32 v1, 2, v23
	v_add_f32_e32 v23, v5, v7
	v_sub_f32_e32 v5, v5, v7
	v_and_b32_e32 v7, 1, v0
	s_barrier_wait -1
	ds_bpermute_b32 v16, v1, v12
	ds_bpermute_b32 v26, v1, v21
	v_add_f32_e32 v27, v2, v3
	v_sub_f32_e32 v2, v2, v3
	v_cmp_eq_u32_e64 s5, 0, v7
	v_add_f32_e32 v3, v13, v15
	ds_bpermute_b32 v29, v1, v6
	ds_bpermute_b32 v25, v1, v23
	;; [unrolled: 1-line block ×3, first 2 shown]
	s_wait_alu 0xf1ff
	v_cndmask_b32_e64 v7, -v12, v12, s5
	v_cndmask_b32_e64 v21, -v21, v21, s5
	ds_bpermute_b32 v12, v1, v5
	v_cndmask_b32_e64 v6, -v6, v6, s5
	v_sub_f32_e32 v13, v13, v15
	ds_bpermute_b32 v15, v1, v24
	v_cndmask_b32_e64 v5, -v5, v5, s5
	v_cndmask_b32_e64 v23, -v23, v23, s5
	;; [unrolled: 1-line block ×3, first 2 shown]
	s_wait_dscnt 0x0
	global_inv scope:SCOPE_SE
	v_dual_add_f32 v7, v7, v16 :: v_dual_add_f32 v16, v21, v26
	ds_bpermute_b32 v28, v1, v27
	v_cndmask_b32_e64 v21, -v24, v24, s5
	v_cndmask_b32_e64 v26, -v27, v27, s5
	ds_bpermute_b32 v27, v1, v22
	v_cndmask_b32_e64 v22, -v22, v22, s5
	ds_bpermute_b32 v24, v1, v3
	v_cndmask_b32_e64 v3, -v3, v3, s5
	v_dual_add_f32 v6, v6, v29 :: v_dual_add_f32 v5, v5, v12
	s_wait_dscnt 0x2
	v_dual_add_f32 v12, v21, v15 :: v_dual_add_f32 v15, v26, v28
	v_xor_b32_e32 v26, 2, v10
	s_wait_dscnt 0x1
	v_add_f32_e32 v22, v22, v27
	s_delay_alu instid0(VALU_DEP_2) | instskip(NEXT) | instid1(VALU_DEP_1)
	v_cmp_gt_i32_e64 s6, 32, v26
	v_cndmask_b32_e64 v26, v10, v26, s6
	v_sub_f32_e32 v9, v9, v11
	v_add_f32_e32 v11, v23, v25
	ds_bpermute_b32 v25, v1, v4
	ds_bpermute_b32 v23, v1, v8
	v_cndmask_b32_e64 v4, -v4, v4, s5
	s_wait_dscnt 0x1
	s_delay_alu instid0(VALU_DEP_1)
	v_add_f32_e32 v4, v4, v25
	ds_bpermute_b32 v28, v1, v31
	ds_bpermute_b32 v25, v1, v14
	v_cndmask_b32_e64 v14, -v14, v14, s5
	v_add_f32_e32 v3, v3, v24
	v_cndmask_b32_e64 v24, -v31, v31, s5
	v_add_f32_e32 v21, v2, v30
	v_cndmask_b32_e64 v2, -v8, v8, s5
	ds_bpermute_b32 v8, v1, v13
	v_cndmask_b32_e64 v13, -v13, v13, s5
	s_wait_dscnt 0x3
	v_dual_add_f32 v23, v2, v23 :: v_dual_lshlrev_b32 v2, 2, v26
	ds_bpermute_b32 v26, v1, v9
	v_cndmask_b32_e64 v9, -v9, v9, s5
	ds_bpermute_b32 v29, v2, v7
	ds_bpermute_b32 v31, v2, v16
	;; [unrolled: 1-line block ×3, first 2 shown]
	s_wait_dscnt 0x6
	v_add_f32_e32 v24, v24, v28
	ds_bpermute_b32 v33, v2, v21
	ds_bpermute_b32 v32, v2, v6
	s_wait_dscnt 0x7
	v_add_f32_e32 v14, v14, v25
	s_wait_dscnt 0x6
	v_add_f32_e32 v8, v13, v8
	v_and_b32_e32 v13, 2, v0
	ds_bpermute_b32 v30, v2, v11
	v_cmp_eq_u32_e64 s6, 0, v13
	ds_bpermute_b32 v13, v2, v5
	s_wait_alu 0xf1ff
	v_cndmask_b32_e64 v7, -v7, v7, s6
	v_cndmask_b32_e64 v16, -v16, v16, s6
	;; [unrolled: 1-line block ×5, first 2 shown]
	s_wait_dscnt 0x6
	v_add_f32_e32 v7, v7, v29
	ds_bpermute_b32 v29, v2, v4
	s_wait_dscnt 0x6
	v_add_f32_e32 v16, v16, v31
	ds_bpermute_b32 v28, v2, v15
	v_cndmask_b32_e64 v4, -v4, v4, s6
	s_wait_dscnt 0x4
	v_dual_add_f32 v9, v9, v26 :: v_dual_add_f32 v6, v6, v32
	ds_bpermute_b32 v26, v2, v3
	v_cndmask_b32_e64 v15, -v15, v15, s6
	v_cndmask_b32_e64 v21, -v21, v21, s6
	s_wait_dscnt 0x3
	v_dual_add_f32 v12, v12, v27 :: v_dual_add_f32 v5, v5, v13
	v_xor_b32_e32 v27, 4, v10
	v_cndmask_b32_e64 v3, -v3, v3, s6
	v_cndmask_b32_e64 v11, -v11, v11, s6
	s_delay_alu instid0(VALU_DEP_3)
	v_cmp_gt_i32_e64 s7, 32, v27
	s_wait_dscnt 0x2
	v_add_f32_e32 v4, v4, v29
	ds_bpermute_b32 v25, v2, v23
	s_wait_dscnt 0x2
	v_add_f32_e32 v13, v15, v28
	v_add_f32_e32 v15, v21, v33
	v_cndmask_b32_e64 v21, -v23, v23, s6
	ds_bpermute_b32 v23, v2, v8
	s_wait_alu 0xf1ff
	v_cndmask_b32_e64 v27, v10, v27, s7
	v_cndmask_b32_e64 v8, -v8, v8, s6
	ds_bpermute_b32 v28, v2, v22
	v_cndmask_b32_e64 v22, -v22, v22, s6
	v_add_f32_e32 v11, v11, v30
	ds_bpermute_b32 v30, v2, v24
	v_cndmask_b32_e64 v24, -v24, v24, s6
	s_wait_dscnt 0x3
	v_add_f32_e32 v21, v21, v25
	v_add_f32_e32 v25, v3, v26
	v_lshlrev_b32_e32 v3, 2, v27
	ds_bpermute_b32 v26, v2, v14
	s_wait_dscnt 0x3
	v_dual_add_f32 v8, v8, v23 :: v_dual_and_b32 v23, 4, v0
	ds_bpermute_b32 v27, v2, v9
	ds_bpermute_b32 v29, v3, v7
	s_wait_dscnt 0x4
	v_add_f32_e32 v22, v22, v28
	v_cndmask_b32_e64 v14, -v14, v14, s6
	v_cmp_eq_u32_e64 s7, 0, v23
	s_wait_dscnt 0x3
	v_add_f32_e32 v24, v24, v30
	v_cndmask_b32_e64 v9, -v9, v9, s6
	s_wait_alu 0xf1ff
	v_cndmask_b32_e64 v7, -v7, v7, s7
	s_wait_dscnt 0x0
	s_delay_alu instid0(VALU_DEP_1) | instskip(SKIP_3) | instid1(VALU_DEP_1)
	v_dual_add_f32 v14, v14, v26 :: v_dual_add_f32 v7, v7, v29
	ds_bpermute_b32 v29, v3, v4
	v_cndmask_b32_e64 v4, -v4, v4, s7
	s_wait_dscnt 0x0
	v_add_f32_e32 v4, v4, v29
	ds_bpermute_b32 v28, v3, v12
	ds_bpermute_b32 v23, v3, v5
	;; [unrolled: 1-line block ×4, first 2 shown]
	v_cndmask_b32_e64 v12, -v12, v12, s7
	ds_bpermute_b32 v32, v3, v16
	v_cndmask_b32_e64 v5, -v5, v5, s7
	v_cndmask_b32_e64 v6, -v6, v6, s7
	;; [unrolled: 1-line block ×3, first 2 shown]
	ds_bpermute_b32 v31, v3, v11
	v_cndmask_b32_e64 v16, -v16, v16, s7
	v_cndmask_b32_e64 v11, -v11, v11, s7
	s_wait_dscnt 0x5
	v_add_f32_e32 v12, v12, v28
	v_xor_b32_e32 v28, 8, v10
	ds_bpermute_b32 v26, v3, v21
	s_wait_dscnt 0x4
	v_dual_add_f32 v5, v5, v23 :: v_dual_add_f32 v6, v6, v33
	ds_bpermute_b32 v23, v3, v8
	v_cmp_gt_i32_e64 s8, 32, v28
	s_wait_dscnt 0x4
	v_add_f32_e32 v13, v13, v30
	ds_bpermute_b32 v30, v3, v22
	v_cndmask_b32_e64 v21, -v21, v21, s7
	s_wait_dscnt 0x4
	v_add_f32_e32 v16, v16, v32
	v_cndmask_b32_e64 v28, v10, v28, s8
	v_add_f32_e32 v9, v9, v27
	ds_bpermute_b32 v27, v3, v25
	v_cndmask_b32_e64 v25, -v25, v25, s7
	v_cndmask_b32_e64 v8, -v8, v8, s7
	v_and_b32_e32 v33, 8, v0
	ds_bpermute_b32 v34, v3, v15
	v_cndmask_b32_e64 v22, -v22, v22, s7
	v_cndmask_b32_e64 v15, -v15, v15, s7
	v_cmp_eq_u32_e64 s8, 0, v33
	s_wait_dscnt 0x4
	v_dual_add_f32 v21, v21, v26 :: v_dual_lshlrev_b32 v26, 2, v28
	ds_bpermute_b32 v28, v3, v9
	s_wait_dscnt 0x4
	v_add_f32_e32 v8, v8, v23
	v_cndmask_b32_e64 v9, -v9, v9, s7
	ds_bpermute_b32 v23, v26, v16
	s_wait_dscnt 0x4
	v_add_f32_e32 v22, v22, v30
	ds_bpermute_b32 v30, v26, v5
	s_wait_alu 0xf1ff
	v_cndmask_b32_e64 v5, -v5, v5, s8
	v_add_f32_e32 v11, v11, v31
	s_wait_dscnt 0x4
	v_add_f32_e32 v25, v25, v27
	ds_bpermute_b32 v27, v3, v14
	ds_bpermute_b32 v31, v3, v24
	v_cndmask_b32_e64 v14, -v14, v14, s7
	v_cndmask_b32_e64 v16, -v16, v16, s8
	s_wait_dscnt 0x5
	v_add_f32_e32 v15, v15, v34
	v_cndmask_b32_e64 v24, -v24, v24, s7
	ds_bpermute_b32 v29, v26, v7
	ds_bpermute_b32 v34, v26, v6
	v_cndmask_b32_e64 v7, -v7, v7, s8
	v_cndmask_b32_e64 v6, -v6, v6, s8
	s_wait_dscnt 0x5
	v_dual_add_f32 v9, v9, v28 :: v_dual_add_f32 v16, v16, v23
	s_wait_dscnt 0x4
	v_add_f32_e32 v28, v5, v30
	ds_bpermute_b32 v32, v26, v11
	v_xor_b32_e32 v30, 16, v10
	v_cndmask_b32_e64 v5, -v21, v21, s8
	s_wait_dscnt 0x4
	v_add_f32_e32 v14, v14, v27
	ds_bpermute_b32 v27, v26, v21
	s_wait_dscnt 0x4
	v_add_f32_e32 v24, v24, v31
	ds_bpermute_b32 v31, v26, v12
	v_cmp_gt_i32_e64 s9, 32, v30
	v_cndmask_b32_e64 v12, -v12, v12, s8
	v_cndmask_b32_e64 v11, -v11, v11, s8
	ds_bpermute_b32 v33, v26, v13
	ds_bpermute_b32 v35, v26, v15
	;; [unrolled: 1-line block ×3, first 2 shown]
	v_cndmask_b32_e64 v15, -v15, v15, s8
	v_cndmask_b32_e64 v8, -v8, v8, s8
	;; [unrolled: 1-line block ×3, first 2 shown]
	s_wait_dscnt 0x5
	v_add_f32_e32 v11, v11, v32
	ds_bpermute_b32 v32, v26, v24
	s_wait_dscnt 0x5
	v_add_f32_e32 v27, v5, v27
	s_wait_alu 0xf1ff
	v_cndmask_b32_e64 v5, v10, v30, s9
	s_wait_dscnt 0x4
	v_add_f32_e32 v12, v12, v31
	ds_bpermute_b32 v31, v26, v22
	v_cndmask_b32_e64 v10, -v22, v22, s8
	v_lshlrev_b32_e32 v22, 2, v5
	ds_bpermute_b32 v23, v26, v25
	v_cndmask_b32_e64 v25, -v25, v25, s8
	v_cndmask_b32_e64 v5, -v24, v24, s8
	v_add_f32_e32 v7, v7, v29
	v_add_f32_e32 v29, v6, v34
	ds_bpermute_b32 v6, v26, v4
	ds_bpermute_b32 v24, v26, v14
	;; [unrolled: 1-line block ×3, first 2 shown]
	v_cndmask_b32_e64 v4, -v4, v4, s8
	s_wait_dscnt 0x6
	v_add_f32_e32 v21, v8, v21
	s_wait_dscnt 0x4
	v_add_f32_e32 v31, v10, v31
	ds_bpermute_b32 v10, v22, v12
	v_add_f32_e32 v15, v15, v35
	s_wait_dscnt 0x4
	v_add_f32_e32 v23, v25, v23
	ds_bpermute_b32 v25, v26, v9
	s_wait_dscnt 0x4
	v_dual_add_f32 v35, v4, v6 :: v_dual_and_b32 v26, 16, v0
	v_cndmask_b32_e64 v4, -v14, v14, s8
	s_delay_alu instid0(VALU_DEP_2)
	v_cmp_eq_u32_e64 s9, 0, v26
	v_add_f32_e32 v26, v5, v32
	ds_bpermute_b32 v30, v22, v7
	s_wait_dscnt 0x4
	v_dual_add_f32 v13, v13, v33 :: v_dual_add_f32 v24, v4, v24
	s_wait_alu 0xf1ff
	v_cndmask_b32_e64 v6, -v7, v7, s9
	v_cndmask_b32_e64 v8, -v16, v16, s9
	s_wait_dscnt 0x0
	s_delay_alu instid0(VALU_DEP_2) | instskip(NEXT) | instid1(VALU_DEP_2)
	v_add_f32_e32 v4, v6, v30
	v_add_f32_e32 v6, v8, v34
	ds_bpermute_b32 v33, v22, v11
	v_cndmask_b32_e64 v5, -v9, v9, s8
	v_cndmask_b32_e64 v7, -v11, v11, s9
	ds_bpermute_b32 v9, v22, v28
	ds_bpermute_b32 v11, v22, v13
	v_cndmask_b32_e64 v8, -v12, v12, s9
	v_cndmask_b32_e64 v12, -v13, v13, s9
	ds_bpermute_b32 v13, v22, v27
	v_add_f32_e32 v25, v5, v25
	ds_bpermute_b32 v30, v22, v35
	v_add_f32_e32 v8, v8, v10
	ds_bpermute_b32 v16, v22, v15
	v_cndmask_b32_e64 v15, -v15, v15, s9
	s_wait_dscnt 0x5
	v_add_f32_e32 v5, v7, v33
	v_cndmask_b32_e64 v7, -v28, v28, s9
	ds_bpermute_b32 v28, v22, v23
	s_wait_dscnt 0x5
	v_add_f32_e32 v7, v7, v9
	s_wait_dscnt 0x4
	v_add_f32_e32 v9, v12, v11
	v_cndmask_b32_e64 v12, -v27, v27, s9
	ds_bpermute_b32 v27, v22, v24
	v_cndmask_b32_e64 v24, -v24, v24, s9
	s_wait_dscnt 0x2
	v_add_f32_e32 v11, v15, v16
	v_cndmask_b32_e64 v15, -v35, v35, s9
	v_add_f32_e32 v12, v12, v13
	ds_bpermute_b32 v14, v22, v29
	v_cndmask_b32_e64 v29, -v29, v29, s9
	ds_bpermute_b32 v16, v22, v26
	v_cndmask_b32_e64 v26, -v26, v26, s9
	s_wait_dscnt 0x1
	v_add_f32_e32 v10, v29, v14
	ds_bpermute_b32 v29, v22, v25
	v_cndmask_b32_e64 v14, -v23, v23, s9
	v_lshrrev_b32_e32 v23, 3, v0
	v_cndmask_b32_e64 v25, -v25, v25, s9
	ds_bpermute_b32 v32, v22, v21
	v_cndmask_b32_e64 v21, -v21, v21, s9
	v_add_f32_e32 v13, v14, v28
	v_and_b32_e32 v28, 7, v0
	v_add_f32_e32 v14, v15, v30
	s_delay_alu instid0(VALU_DEP_2)
	v_lshl_or_b32 v30, v28, 5, v23
	s_wait_dscnt 0x1
	v_dual_add_f32 v23, v24, v27 :: v_dual_add_f32 v24, v25, v29
	ds_bpermute_b32 v33, v22, v31
	v_cndmask_b32_e64 v22, -v31, v31, s9
	s_wait_dscnt 0x1
	v_add_f32_e32 v15, v21, v32
	s_wait_dscnt 0x0
	s_delay_alu instid0(VALU_DEP_2) | instskip(SKIP_1) | instid1(VALU_DEP_1)
	v_add_f32_e32 v21, v22, v33
	v_lshrrev_b32_e32 v22, 5, v0
	v_xor_b32_e32 v0, v22, v0
	v_add_f32_e32 v22, v26, v16
	s_delay_alu instid0(VALU_DEP_2)
	v_lshl_add_u32 v16, v0, 4, 0
	v_xor_b32_e32 v0, v30, v28
	ds_store_b128 v16, v[4:7]
	ds_store_b128 v16, v[8:11] offset:4096
	ds_store_b128 v16, v[12:15] offset:8192
	;; [unrolled: 1-line block ×3, first 2 shown]
	v_lshl_add_u32 v25, v0, 4, 0
	s_wait_loadcnt_dscnt 0x0
	s_barrier_signal -1
	s_barrier_wait -1
	global_inv scope:SCOPE_SE
	ds_load_b128 v[4:7], v25
	ds_load_b128 v[8:11], v25 offset:4096
	ds_load_b128 v[12:15], v25 offset:8192
	;; [unrolled: 1-line block ×3, first 2 shown]
	s_wait_loadcnt_dscnt 0x0
	s_barrier_signal -1
	s_barrier_wait -1
	global_inv scope:SCOPE_SE
	ds_bpermute_b32 v0, v1, v4
	ds_bpermute_b32 v26, v1, v5
	;; [unrolled: 1-line block ×4, first 2 shown]
	v_cndmask_b32_e64 v4, -v4, v4, s5
	v_cndmask_b32_e64 v5, -v5, v5, s5
	;; [unrolled: 1-line block ×3, first 2 shown]
	ds_bpermute_b32 v28, v1, v7
	ds_bpermute_b32 v29, v1, v8
	;; [unrolled: 1-line block ×6, first 2 shown]
	v_cndmask_b32_e64 v15, -v15, v15, s5
	v_cndmask_b32_e64 v21, -v21, v21, s5
	s_wait_dscnt 0x9
	v_add_f32_e32 v0, v4, v0
	s_wait_dscnt 0x7
	v_dual_add_f32 v4, v5, v26 :: v_dual_add_f32 v5, v6, v27
	v_cndmask_b32_e64 v6, -v7, v7, s5
	v_cndmask_b32_e64 v7, -v8, v8, s5
	;; [unrolled: 1-line block ×5, first 2 shown]
	ds_bpermute_b32 v11, v1, v12
	ds_bpermute_b32 v26, v1, v13
	;; [unrolled: 1-line block ×3, first 2 shown]
	s_wait_dscnt 0x9
	v_add_f32_e32 v8, v8, v30
	ds_bpermute_b32 v30, v2, v0
	s_wait_dscnt 0x8
	v_dual_add_f32 v6, v6, v28 :: v_dual_add_f32 v7, v7, v29
	s_wait_dscnt 0x7
	v_add_f32_e32 v9, v9, v31
	v_cndmask_b32_e64 v12, -v12, v12, s5
	v_cndmask_b32_e64 v13, -v13, v13, s5
	;; [unrolled: 1-line block ×3, first 2 shown]
	ds_bpermute_b32 v28, v1, v22
	ds_bpermute_b32 v29, v1, v23
	;; [unrolled: 1-line block ×4, first 2 shown]
	v_cndmask_b32_e64 v0, -v0, v0, s6
	v_cndmask_b32_e64 v4, -v4, v4, s6
	s_wait_dscnt 0xa
	v_add_f32_e32 v10, v10, v32
	ds_bpermute_b32 v32, v2, v8
	s_wait_dscnt 0x7
	v_dual_add_f32 v11, v12, v11 :: v_dual_add_f32 v12, v13, v26
	s_wait_dscnt 0x6
	v_dual_add_f32 v13, v14, v27 :: v_dual_add_f32 v14, v15, v33
	v_add_f32_e32 v15, v21, v34
	v_cndmask_b32_e64 v21, -v22, v22, s5
	v_cndmask_b32_e64 v22, -v23, v23, s5
	;; [unrolled: 1-line block ×3, first 2 shown]
	s_wait_dscnt 0x5
	v_add_f32_e32 v0, v0, v30
	ds_bpermute_b32 v24, v2, v5
	ds_bpermute_b32 v26, v2, v6
	ds_bpermute_b32 v33, v2, v9
	s_wait_dscnt 0x6
	v_add_f32_e32 v22, v22, v29
	s_wait_dscnt 0x5
	v_add_f32_e32 v1, v23, v1
	;; [unrolled: 2-line block ×3, first 2 shown]
	v_cndmask_b32_e64 v4, -v5, v5, s6
	v_cndmask_b32_e64 v5, -v6, v6, s6
	ds_bpermute_b32 v29, v2, v12
	ds_bpermute_b32 v30, v2, v13
	ds_bpermute_b32 v31, v2, v14
	s_load_b32 s5, s[0:1], 0x20
	s_mul_u64 s[0:1], s[14:15], s[16:17]
	s_delay_alu instid0(SALU_CYCLE_1) | instskip(NEXT) | instid1(SALU_CYCLE_1)
	s_lshl_b64 s[0:1], s[0:1], 2
	s_add_nc_u64 s[0:1], s[10:11], s[0:1]
	s_wait_dscnt 0x5
	v_add_f32_e32 v24, v4, v24
	ds_bpermute_b32 v27, v2, v7
	v_cndmask_b32_e64 v6, -v7, v7, s6
	v_cndmask_b32_e64 v7, -v8, v8, s6
	;; [unrolled: 1-line block ×3, first 2 shown]
	ds_bpermute_b32 v9, v2, v10
	v_cndmask_b32_e64 v4, -v10, v10, s6
	v_cndmask_b32_e64 v10, -v11, v11, s6
	s_wait_dscnt 0x5
	v_dual_add_f32 v5, v5, v26 :: v_dual_add_f32 v8, v8, v33
	s_wait_dscnt 0x1
	v_add_f32_e32 v6, v6, v27
	ds_bpermute_b32 v27, v2, v22
	s_wait_dscnt 0x1
	v_add_f32_e32 v9, v4, v9
	v_cndmask_b32_e64 v4, -v15, v15, s6
	v_add_f32_e32 v21, v21, v28
	ds_bpermute_b32 v28, v2, v11
	v_cndmask_b32_e64 v11, -v12, v12, s6
	v_cndmask_b32_e64 v12, -v13, v13, s6
	;; [unrolled: 1-line block ×3, first 2 shown]
	ds_bpermute_b32 v14, v2, v15
	v_add_f32_e32 v12, v12, v30
	ds_bpermute_b32 v30, v3, v6
	ds_bpermute_b32 v35, v3, v12
	v_add_f32_e32 v11, v11, v29
	ds_bpermute_b32 v29, v3, v5
	s_wait_dscnt 0x4
	v_add_f32_e32 v10, v10, v28
	ds_bpermute_b32 v28, v3, v24
	s_wait_dscnt 0x4
	v_add_f32_e32 v14, v4, v14
	ds_bpermute_b32 v33, v3, v10
	v_add_f32_e32 v7, v7, v32
	ds_bpermute_b32 v32, v3, v0
	v_cndmask_b32_e64 v0, -v0, v0, s7
	ds_bpermute_b32 v26, v2, v21
	v_cndmask_b32_e64 v15, -v21, v21, s6
	v_cndmask_b32_e64 v21, -v22, v22, s6
	ds_bpermute_b32 v22, v3, v23
	v_add_f32_e32 v21, v21, v27
	ds_bpermute_b32 v27, v3, v8
	s_wait_dscnt 0x3
	v_add_f32_e32 v4, v0, v32
	ds_bpermute_b32 v2, v2, v1
	v_cndmask_b32_e64 v1, -v1, v1, s6
	s_wait_dscnt 0x3
	v_add_f32_e32 v15, v15, v26
	v_cndmask_b32_e64 v0, -v23, v23, s7
	v_cndmask_b32_e64 v23, -v6, v6, s7
	s_wait_dscnt 0x0
	v_add_f32_e32 v26, v1, v2
	v_cndmask_b32_e64 v1, -v24, v24, s7
	v_cndmask_b32_e64 v2, -v5, v5, s7
	v_add_f32_e32 v5, v0, v22
	v_add_f32_e32 v0, v23, v30
	ds_bpermute_b32 v23, v3, v14
	v_add_f32_e32 v6, v1, v28
	ds_bpermute_b32 v28, v3, v21
	;; [unrolled: 2-line block ×3, first 2 shown]
	v_cndmask_b32_e64 v24, -v7, v7, s7
	v_add_f32_e32 v7, v2, v29
	v_cndmask_b32_e64 v2, -v8, v8, s7
	v_cndmask_b32_e64 v8, -v10, v10, s7
	;; [unrolled: 1-line block ×5, first 2 shown]
	ds_bpermute_b32 v32, v3, v9
	ds_bpermute_b32 v29, v3, v26
	v_add_f32_e32 v10, v10, v35
	ds_bpermute_b32 v34, v3, v11
	v_add_f32_e32 v2, v2, v27
	v_add_f32_e32 v8, v8, v33
	s_wait_dscnt 0x5
	v_add_f32_e32 v12, v12, v23
	s_wait_dscnt 0x4
	v_add_f32_e32 v14, v14, v28
	ds_bpermute_b32 v22, v3, v13
	s_wait_dscnt 0x4
	v_add_f32_e32 v1, v24, v31
	ds_bpermute_b32 v24, v3, v15
	v_cndmask_b32_e64 v3, -v9, v9, s7
	v_cndmask_b32_e64 v9, -v11, v11, s7
	;; [unrolled: 1-line block ×5, first 2 shown]
	s_wait_dscnt 0x4
	v_add_f32_e32 v3, v3, v32
	s_wait_dscnt 0x2
	v_add_f32_e32 v9, v9, v34
	v_add_f32_e32 v15, v15, v29
	s_wait_dscnt 0x1
	v_add_f32_e32 v11, v11, v22
	s_wait_dscnt 0x0
	v_add_f32_e32 v13, v13, v24
	ds_store_b128 v25, v[4:7]
	ds_store_b128 v25, v[0:3] offset:4096
	ds_store_b128 v25, v[8:11] offset:8192
	ds_store_b128 v25, v[12:15] offset:12288
	s_wait_loadcnt_dscnt 0x0
	s_barrier_signal -1
	s_barrier_wait -1
	global_inv scope:SCOPE_SE
	ds_load_b128 v[8:11], v16
	ds_load_b128 v[12:15], v16 offset:4096
	ds_load_b128 v[0:3], v16 offset:8192
	ds_load_b128 v[4:7], v16 offset:12288
	s_wait_dscnt 0x2
	v_dual_add_f32 v16, v8, v12 :: v_dual_add_f32 v21, v9, v13
	v_dual_add_f32 v22, v10, v14 :: v_dual_add_f32 v23, v11, v15
	s_wait_dscnt 0x0
	v_dual_add_f32 v24, v0, v4 :: v_dual_add_f32 v25, v1, v5
	v_dual_add_f32 v26, v2, v6 :: v_dual_add_f32 v27, v3, v7
	s_and_saveexec_b32 s6, vcc_lo
	s_cbranch_execz .LBB9_10
; %bb.9:
	s_delay_alu instid0(VALU_DEP_1) | instskip(SKIP_2) | instid1(VALU_DEP_2)
	v_dual_add_f32 v28, v23, v27 :: v_dual_add_f32 v29, v22, v26
	v_dual_add_f32 v32, v21, v25 :: v_dual_add_f32 v33, v16, v24
	s_wait_kmcnt 0x0
	v_dual_mul_f32 v31, s5, v28 :: v_dual_mul_f32 v30, s5, v29
	s_delay_alu instid0(VALU_DEP_2)
	v_dual_mul_f32 v29, s5, v32 :: v_dual_mul_f32 v28, s5, v33
	global_store_b128 v17, v[28:31], s[0:1]
.LBB9_10:
	s_wait_alu 0xfffe
	s_or_b32 exec_lo, exec_lo, s6
	v_dual_sub_f32 v8, v8, v12 :: v_dual_sub_f32 v9, v9, v13
	v_dual_sub_f32 v10, v10, v14 :: v_dual_sub_f32 v11, v11, v15
	;; [unrolled: 1-line block ×4, first 2 shown]
	s_and_saveexec_b32 s6, s2
	s_cbranch_execnz .LBB9_14
; %bb.11:
	s_wait_alu 0xfffe
	s_or_b32 exec_lo, exec_lo, s6
	s_and_saveexec_b32 s2, s3
	s_cbranch_execnz .LBB9_15
.LBB9_12:
	s_or_b32 exec_lo, exec_lo, s2
	s_and_saveexec_b32 s2, s4
	s_cbranch_execnz .LBB9_16
.LBB9_13:
	s_endpgm
.LBB9_14:
	s_delay_alu instid0(VALU_DEP_2) | instskip(NEXT) | instid1(VALU_DEP_2)
	v_dual_add_f32 v4, v8, v0 :: v_dual_add_f32 v5, v9, v1
	v_dual_add_f32 v6, v10, v2 :: v_dual_add_f32 v7, v11, v3
	s_wait_kmcnt 0x0
	s_delay_alu instid0(VALU_DEP_2) | instskip(NEXT) | instid1(VALU_DEP_2)
	v_dual_mul_f32 v4, s5, v4 :: v_dual_mul_f32 v5, s5, v5
	v_dual_mul_f32 v6, s5, v6 :: v_dual_mul_f32 v7, s5, v7
	global_store_b128 v18, v[4:7], s[0:1]
	s_wait_alu 0xfffe
	s_or_b32 exec_lo, exec_lo, s6
	s_and_saveexec_b32 s2, s3
	s_cbranch_execz .LBB9_12
.LBB9_15:
	v_dual_sub_f32 v4, v16, v24 :: v_dual_sub_f32 v5, v21, v25
	v_dual_sub_f32 v6, v22, v26 :: v_dual_sub_f32 v7, v23, v27
	s_wait_kmcnt 0x0
	s_delay_alu instid0(VALU_DEP_2) | instskip(NEXT) | instid1(VALU_DEP_2)
	v_dual_mul_f32 v4, s5, v4 :: v_dual_mul_f32 v5, s5, v5
	v_dual_mul_f32 v6, s5, v6 :: v_dual_mul_f32 v7, s5, v7
	global_store_b128 v19, v[4:7], s[0:1]
	s_or_b32 exec_lo, exec_lo, s2
	s_and_saveexec_b32 s2, s4
	s_cbranch_execz .LBB9_13
.LBB9_16:
	v_dual_sub_f32 v0, v8, v0 :: v_dual_sub_f32 v1, v9, v1
	v_dual_sub_f32 v2, v10, v2 :: v_dual_sub_f32 v3, v11, v3
	s_wait_kmcnt 0x0
	s_delay_alu instid0(VALU_DEP_2) | instskip(NEXT) | instid1(VALU_DEP_2)
	v_dual_mul_f32 v0, s5, v0 :: v_dual_mul_f32 v1, s5, v1
	v_dual_mul_f32 v2, s5, v2 :: v_dual_mul_f32 v3, s5, v3
	global_store_b128 v20, v[0:3], s[0:1]
	s_endpgm
	.section	.rodata,"a",@progbits
	.p2align	6, 0x0
	.amdhsa_kernel _Z30fast_hadamard_transform_kernelI37fast_hadamard_transform_kernel_traitsILi256ELi12EfEEv18HadamardParamsBase
		.amdhsa_group_segment_fixed_size 0
		.amdhsa_private_segment_fixed_size 0
		.amdhsa_kernarg_size 312
		.amdhsa_user_sgpr_count 2
		.amdhsa_user_sgpr_dispatch_ptr 0
		.amdhsa_user_sgpr_queue_ptr 0
		.amdhsa_user_sgpr_kernarg_segment_ptr 1
		.amdhsa_user_sgpr_dispatch_id 0
		.amdhsa_user_sgpr_private_segment_size 0
		.amdhsa_wavefront_size32 1
		.amdhsa_uses_dynamic_stack 0
		.amdhsa_enable_private_segment 0
		.amdhsa_system_sgpr_workgroup_id_x 1
		.amdhsa_system_sgpr_workgroup_id_y 0
		.amdhsa_system_sgpr_workgroup_id_z 0
		.amdhsa_system_sgpr_workgroup_info 0
		.amdhsa_system_vgpr_workitem_id 0
		.amdhsa_next_free_vgpr 36
		.amdhsa_next_free_sgpr 18
		.amdhsa_reserve_vcc 1
		.amdhsa_float_round_mode_32 0
		.amdhsa_float_round_mode_16_64 0
		.amdhsa_float_denorm_mode_32 3
		.amdhsa_float_denorm_mode_16_64 3
		.amdhsa_fp16_overflow 0
		.amdhsa_workgroup_processor_mode 1
		.amdhsa_memory_ordered 1
		.amdhsa_forward_progress 1
		.amdhsa_inst_pref_size 34
		.amdhsa_round_robin_scheduling 0
		.amdhsa_exception_fp_ieee_invalid_op 0
		.amdhsa_exception_fp_denorm_src 0
		.amdhsa_exception_fp_ieee_div_zero 0
		.amdhsa_exception_fp_ieee_overflow 0
		.amdhsa_exception_fp_ieee_underflow 0
		.amdhsa_exception_fp_ieee_inexact 0
		.amdhsa_exception_int_div_zero 0
	.end_amdhsa_kernel
	.section	.text._Z30fast_hadamard_transform_kernelI37fast_hadamard_transform_kernel_traitsILi256ELi12EfEEv18HadamardParamsBase,"axG",@progbits,_Z30fast_hadamard_transform_kernelI37fast_hadamard_transform_kernel_traitsILi256ELi12EfEEv18HadamardParamsBase,comdat
.Lfunc_end9:
	.size	_Z30fast_hadamard_transform_kernelI37fast_hadamard_transform_kernel_traitsILi256ELi12EfEEv18HadamardParamsBase, .Lfunc_end9-_Z30fast_hadamard_transform_kernelI37fast_hadamard_transform_kernel_traitsILi256ELi12EfEEv18HadamardParamsBase
                                        ; -- End function
	.set _Z30fast_hadamard_transform_kernelI37fast_hadamard_transform_kernel_traitsILi256ELi12EfEEv18HadamardParamsBase.num_vgpr, 36
	.set _Z30fast_hadamard_transform_kernelI37fast_hadamard_transform_kernel_traitsILi256ELi12EfEEv18HadamardParamsBase.num_agpr, 0
	.set _Z30fast_hadamard_transform_kernelI37fast_hadamard_transform_kernel_traitsILi256ELi12EfEEv18HadamardParamsBase.numbered_sgpr, 18
	.set _Z30fast_hadamard_transform_kernelI37fast_hadamard_transform_kernel_traitsILi256ELi12EfEEv18HadamardParamsBase.num_named_barrier, 0
	.set _Z30fast_hadamard_transform_kernelI37fast_hadamard_transform_kernel_traitsILi256ELi12EfEEv18HadamardParamsBase.private_seg_size, 0
	.set _Z30fast_hadamard_transform_kernelI37fast_hadamard_transform_kernel_traitsILi256ELi12EfEEv18HadamardParamsBase.uses_vcc, 1
	.set _Z30fast_hadamard_transform_kernelI37fast_hadamard_transform_kernel_traitsILi256ELi12EfEEv18HadamardParamsBase.uses_flat_scratch, 0
	.set _Z30fast_hadamard_transform_kernelI37fast_hadamard_transform_kernel_traitsILi256ELi12EfEEv18HadamardParamsBase.has_dyn_sized_stack, 0
	.set _Z30fast_hadamard_transform_kernelI37fast_hadamard_transform_kernel_traitsILi256ELi12EfEEv18HadamardParamsBase.has_recursion, 0
	.set _Z30fast_hadamard_transform_kernelI37fast_hadamard_transform_kernel_traitsILi256ELi12EfEEv18HadamardParamsBase.has_indirect_call, 0
	.section	.AMDGPU.csdata,"",@progbits
; Kernel info:
; codeLenInByte = 4256
; TotalNumSgprs: 20
; NumVgprs: 36
; ScratchSize: 0
; MemoryBound: 0
; FloatMode: 240
; IeeeMode: 1
; LDSByteSize: 0 bytes/workgroup (compile time only)
; SGPRBlocks: 0
; VGPRBlocks: 4
; NumSGPRsForWavesPerEU: 20
; NumVGPRsForWavesPerEU: 36
; Occupancy: 16
; WaveLimiterHint : 0
; COMPUTE_PGM_RSRC2:SCRATCH_EN: 0
; COMPUTE_PGM_RSRC2:USER_SGPR: 2
; COMPUTE_PGM_RSRC2:TRAP_HANDLER: 0
; COMPUTE_PGM_RSRC2:TGID_X_EN: 1
; COMPUTE_PGM_RSRC2:TGID_Y_EN: 0
; COMPUTE_PGM_RSRC2:TGID_Z_EN: 0
; COMPUTE_PGM_RSRC2:TIDIG_COMP_CNT: 0
	.section	.text._Z30fast_hadamard_transform_kernelI37fast_hadamard_transform_kernel_traitsILi256ELi13EfEEv18HadamardParamsBase,"axG",@progbits,_Z30fast_hadamard_transform_kernelI37fast_hadamard_transform_kernel_traitsILi256ELi13EfEEv18HadamardParamsBase,comdat
	.protected	_Z30fast_hadamard_transform_kernelI37fast_hadamard_transform_kernel_traitsILi256ELi13EfEEv18HadamardParamsBase ; -- Begin function _Z30fast_hadamard_transform_kernelI37fast_hadamard_transform_kernel_traitsILi256ELi13EfEEv18HadamardParamsBase
	.globl	_Z30fast_hadamard_transform_kernelI37fast_hadamard_transform_kernel_traitsILi256ELi13EfEEv18HadamardParamsBase
	.p2align	8
	.type	_Z30fast_hadamard_transform_kernelI37fast_hadamard_transform_kernel_traitsILi256ELi13EfEEv18HadamardParamsBase,@function
_Z30fast_hadamard_transform_kernelI37fast_hadamard_transform_kernel_traitsILi256ELi13EfEEv18HadamardParamsBase: ; @_Z30fast_hadamard_transform_kernelI37fast_hadamard_transform_kernel_traitsILi256ELi13EfEEv18HadamardParamsBase
; %bb.0:
	s_clause 0x3
	s_load_b128 s[16:19], s[0:1], 0x10
	s_load_b32 s8, s[0:1], 0x4
	s_load_b128 s[12:15], s[0:1], 0x28
	s_load_b32 s2, s[0:1], 0x44
	v_dual_mov_b32 v1, 0 :: v_dual_lshlrev_b32 v2, 2, v0
	s_mov_b32 s20, ttmp9
	s_ashr_i32 s21, ttmp9, 31
	v_dual_mov_b32 v5, 0 :: v_dual_mov_b32 v6, 0
	v_dual_mov_b32 v7, 0 :: v_dual_lshlrev_b32 v36, 4, v0
	v_mov_b32_e32 v8, 0
	s_wait_kmcnt 0x0
	s_mul_u64 s[6:7], s[16:17], s[20:21]
	v_cmp_gt_u32_e64 s4, s8, v2
	s_lshl_b64 s[6:7], s[6:7], 2
	s_delay_alu instid0(SALU_CYCLE_1)
	s_add_nc_u64 s[10:11], s[12:13], s[6:7]
	s_and_saveexec_b32 s3, s4
	s_cbranch_execz .LBB10_2
; %bb.1:
	global_load_b128 v[5:8], v36, s[10:11]
.LBB10_2:
	s_or_b32 exec_lo, exec_lo, s3
	s_and_b32 s9, 0xffff, s2
	s_wait_alu 0xfffe
	v_dual_mov_b32 v2, 0 :: v_dual_add_nc_u32 v9, s9, v0
	s_delay_alu instid0(VALU_DEP_1) | instskip(SKIP_1) | instid1(VALU_DEP_2)
	v_dual_mov_b32 v3, 0 :: v_dual_lshlrev_b32 v4, 2, v9
	v_lshlrev_b32_e32 v33, 4, v9
	v_cmp_gt_u32_e32 vcc_lo, s8, v4
	v_mov_b32_e32 v4, 0
	s_and_saveexec_b32 s2, vcc_lo
	s_cbranch_execz .LBB10_4
; %bb.3:
	global_load_b128 v[1:4], v33, s[10:11]
.LBB10_4:
	s_or_b32 exec_lo, exec_lo, s2
	v_dual_mov_b32 v9, 0 :: v_dual_add_nc_u32 v10, s9, v9
	v_mov_b32_e32 v13, 0
	v_dual_mov_b32 v15, 0 :: v_dual_mov_b32 v16, 0
	s_delay_alu instid0(VALU_DEP_3) | instskip(SKIP_1) | instid1(VALU_DEP_2)
	v_dual_mov_b32 v14, 0 :: v_dual_lshlrev_b32 v11, 2, v10
	v_lshlrev_b32_e32 v34, 4, v10
	v_cmp_gt_u32_e64 s2, s8, v11
	s_and_saveexec_b32 s3, s2
	s_cbranch_execz .LBB10_6
; %bb.5:
	global_load_b128 v[13:16], v34, s[10:11]
.LBB10_6:
	s_or_b32 exec_lo, exec_lo, s3
	v_dual_mov_b32 v10, 0 :: v_dual_add_nc_u32 v17, s9, v10
	s_delay_alu instid0(VALU_DEP_1) | instskip(SKIP_1) | instid1(VALU_DEP_2)
	v_dual_mov_b32 v11, 0 :: v_dual_lshlrev_b32 v12, 2, v17
	v_lshlrev_b32_e32 v35, 4, v17
	v_cmp_gt_u32_e64 s3, s8, v12
	v_mov_b32_e32 v12, 0
	s_and_saveexec_b32 s5, s3
	s_cbranch_execz .LBB10_8
; %bb.7:
	global_load_b128 v[9:12], v35, s[10:11]
.LBB10_8:
	s_or_b32 exec_lo, exec_lo, s5
	v_dual_mov_b32 v17, 0 :: v_dual_add_nc_u32 v18, s9, v17
	v_dual_mov_b32 v21, 0 :: v_dual_mov_b32 v24, 0
	v_mov_b32_e32 v23, 0
	s_delay_alu instid0(VALU_DEP_3) | instskip(SKIP_1) | instid1(VALU_DEP_2)
	v_dual_mov_b32 v22, 0 :: v_dual_lshlrev_b32 v19, 2, v18
	v_lshlrev_b32_e32 v37, 4, v18
	v_cmp_gt_u32_e64 s5, s8, v19
	s_and_saveexec_b32 s6, s5
	s_cbranch_execz .LBB10_10
; %bb.9:
	global_load_b128 v[21:24], v37, s[10:11]
.LBB10_10:
	s_or_b32 exec_lo, exec_lo, s6
	v_dual_mov_b32 v18, 0 :: v_dual_add_nc_u32 v25, s9, v18
	s_delay_alu instid0(VALU_DEP_1) | instskip(SKIP_1) | instid1(VALU_DEP_2)
	v_dual_mov_b32 v19, 0 :: v_dual_lshlrev_b32 v20, 2, v25
	v_lshlrev_b32_e32 v38, 4, v25
	v_cmp_gt_u32_e64 s6, s8, v20
	v_mov_b32_e32 v20, 0
	s_and_saveexec_b32 s7, s6
	s_cbranch_execz .LBB10_12
; %bb.11:
	global_load_b128 v[17:20], v38, s[10:11]
.LBB10_12:
	s_or_b32 exec_lo, exec_lo, s7
	v_dual_mov_b32 v25, 0 :: v_dual_add_nc_u32 v26, s9, v25
	v_dual_mov_b32 v29, 0 :: v_dual_mov_b32 v32, 0
	v_mov_b32_e32 v31, 0
	s_delay_alu instid0(VALU_DEP_3) | instskip(SKIP_1) | instid1(VALU_DEP_2)
	v_dual_mov_b32 v30, 0 :: v_dual_lshlrev_b32 v27, 2, v26
	v_lshlrev_b32_e32 v39, 4, v26
	v_cmp_gt_u32_e64 s7, s8, v27
	s_and_saveexec_b32 s12, s7
	s_cbranch_execz .LBB10_14
; %bb.13:
	global_load_b128 v[29:32], v39, s[10:11]
.LBB10_14:
	s_or_b32 exec_lo, exec_lo, s12
	v_dual_mov_b32 v27, 0 :: v_dual_add_nc_u32 v28, s9, v26
	s_delay_alu instid0(VALU_DEP_1) | instskip(SKIP_2) | instid1(VALU_DEP_3)
	v_dual_mov_b32 v26, 0 :: v_dual_lshlrev_b32 v41, 2, v28
	v_lshlrev_b32_e32 v40, 4, v28
	v_mov_b32_e32 v28, 0
	v_cmp_gt_u32_e64 s8, s8, v41
	s_and_saveexec_b32 s9, s8
	s_cbranch_execz .LBB10_16
; %bb.15:
	global_load_b128 v[25:28], v40, s[10:11]
.LBB10_16:
	s_wait_alu 0xfffe
	s_or_b32 exec_lo, exec_lo, s9
	s_wait_loadcnt 0x0
	v_add_f32_e32 v41, v5, v6
	v_sub_f32_e32 v5, v5, v6
	v_add_f32_e32 v6, v1, v2
	v_sub_f32_e32 v1, v1, v2
	;; [unrolled: 2-line block ×7, first 2 shown]
	v_add_f32_e32 v30, v25, v26
	v_dual_sub_f32 v25, v25, v26 :: v_dual_add_f32 v26, v7, v8
	v_sub_f32_e32 v7, v7, v8
	v_add_f32_e32 v8, v3, v4
	v_sub_f32_e32 v3, v3, v4
	v_add_f32_e32 v4, v15, v16
	;; [unrolled: 2-line block ×7, first 2 shown]
	v_dual_sub_f32 v27, v27, v28 :: v_dual_add_f32 v28, v41, v26
	v_dual_sub_f32 v26, v41, v26 :: v_dual_add_f32 v41, v6, v8
	v_sub_f32_e32 v6, v6, v8
	v_add_f32_e32 v8, v2, v4
	v_sub_f32_e32 v2, v2, v4
	v_mbcnt_lo_u32_b32 v4, -1, 0
	v_add_f32_e32 v42, v14, v16
	v_sub_f32_e32 v14, v14, v16
	v_add_f32_e32 v16, v10, v12
	v_sub_f32_e32 v10, v10, v12
	v_xor_b32_e32 v43, 1, v4
	v_add_f32_e32 v12, v22, v24
	v_sub_f32_e32 v22, v22, v24
	v_add_f32_e32 v24, v18, v20
	v_sub_f32_e32 v18, v18, v20
	v_cmp_gt_i32_e64 s9, 32, v43
	v_add_f32_e32 v20, v30, v32
	v_dual_sub_f32 v30, v30, v32 :: v_dual_add_f32 v49, v29, v31
	v_add_f32_e32 v32, v5, v7
	v_sub_f32_e32 v5, v5, v7
	v_add_f32_e32 v7, v1, v3
	v_sub_f32_e32 v3, v1, v3
	s_wait_alu 0xf1ff
	v_cndmask_b32_e64 v1, v4, v43, s9
	s_barrier_signal -1
	s_barrier_wait -1
	global_inv scope:SCOPE_SE
	v_lshlrev_b32_e32 v1, 2, v1
	ds_bpermute_b32 v43, v1, v28
	ds_bpermute_b32 v48, v1, v41
	v_add_f32_e32 v44, v13, v15
	v_sub_f32_e32 v13, v13, v15
	v_add_f32_e32 v15, v9, v11
	v_sub_f32_e32 v9, v9, v11
	;; [unrolled: 2-line block ×4, first 2 shown]
	v_and_b32_e32 v19, 1, v0
	ds_bpermute_b32 v45, v1, v32
	ds_bpermute_b32 v46, v1, v26
	;; [unrolled: 1-line block ×4, first 2 shown]
	v_cmp_eq_u32_e64 s9, 0, v19
	v_sub_f32_e32 v19, v29, v31
	ds_bpermute_b32 v51, v1, v8
	s_wait_alu 0xf1ff
	v_cndmask_b32_e64 v26, -v26, v26, s9
	v_add_f32_e32 v29, v25, v27
	v_cndmask_b32_e64 v31, -v41, v41, s9
	ds_bpermute_b32 v41, v1, v6
	v_cndmask_b32_e64 v6, -v6, v6, s9
	v_sub_f32_e32 v25, v25, v27
	v_cndmask_b32_e64 v27, -v28, v28, s9
	v_cndmask_b32_e64 v28, -v32, v32, s9
	ds_bpermute_b32 v32, v1, v7
	s_wait_dscnt 0x7
	v_add_f32_e32 v31, v31, v48
	ds_bpermute_b32 v52, v1, v44
	s_wait_dscnt 0x7
	v_dual_add_f32 v27, v27, v43 :: v_dual_add_f32 v28, v28, v45
	v_cndmask_b32_e64 v43, -v44, v44, s9
	ds_bpermute_b32 v44, v1, v2
	ds_bpermute_b32 v45, v1, v13
	v_cndmask_b32_e64 v5, -v5, v5, s9
	s_wait_dscnt 0x8
	v_add_f32_e32 v26, v26, v46
	v_cndmask_b32_e64 v7, -v7, v7, s9
	v_cndmask_b32_e64 v3, -v3, v3, s9
	ds_bpermute_b32 v46, v1, v42
	s_wait_dscnt 0x8
	v_add_f32_e32 v5, v5, v47
	ds_bpermute_b32 v47, v1, v15
	ds_bpermute_b32 v48, v1, v14
	s_wait_dscnt 0x7
	v_add_f32_e32 v6, v6, v41
	v_cndmask_b32_e64 v2, -v2, v2, s9
	v_cndmask_b32_e64 v13, -v13, v13, s9
	v_cndmask_b32_e64 v41, -v42, v42, s9
	ds_bpermute_b32 v42, v1, v9
	v_cndmask_b32_e64 v8, -v8, v8, s9
	s_wait_dscnt 0x7
	v_add_f32_e32 v7, v7, v32
	s_wait_dscnt 0x6
	v_add_f32_e32 v32, v43, v52
	v_cndmask_b32_e64 v14, -v14, v14, s9
	v_add_f32_e32 v3, v3, v50
	ds_bpermute_b32 v43, v1, v16
	ds_bpermute_b32 v50, v1, v11
	s_wait_dscnt 0x7
	v_add_f32_e32 v44, v2, v44
	v_cndmask_b32_e64 v2, -v9, v9, s9
	s_wait_dscnt 0x6
	v_add_f32_e32 v13, v13, v45
	ds_bpermute_b32 v45, v1, v23
	v_cndmask_b32_e64 v15, -v15, v15, s9
	v_cndmask_b32_e64 v9, -v16, v16, s9
	ds_bpermute_b32 v16, v1, v12
	v_add_f32_e32 v8, v8, v51
	ds_bpermute_b32 v51, v1, v10
	ds_bpermute_b32 v52, v1, v21
	s_wait_dscnt 0x7
	v_add_f32_e32 v14, v14, v48
	v_cndmask_b32_e64 v11, -v11, v11, s9
	ds_bpermute_b32 v48, v1, v24
	v_cndmask_b32_e64 v10, -v10, v10, s9
	v_add_f32_e32 v41, v41, v46
	ds_bpermute_b32 v46, v1, v22
	s_wait_dscnt 0x8
	v_add_f32_e32 v42, v2, v42
	v_cndmask_b32_e64 v2, -v12, v12, s9
	v_add_f32_e32 v15, v15, v47
	ds_bpermute_b32 v47, v1, v17
	v_cndmask_b32_e64 v12, -v23, v23, s9
	ds_bpermute_b32 v23, v1, v49
	s_wait_dscnt 0x9
	v_add_f32_e32 v9, v9, v43
	ds_bpermute_b32 v43, v1, v18
	v_cndmask_b32_e64 v24, -v24, v24, s9
	s_wait_dscnt 0x9
	v_add_f32_e32 v11, v11, v50
	ds_bpermute_b32 v50, v1, v19
	s_wait_dscnt 0x9
	v_add_f32_e32 v12, v12, v45
	v_xor_b32_e32 v45, 2, v4
	v_cndmask_b32_e64 v21, -v21, v21, s9
	v_cndmask_b32_e64 v22, -v22, v22, s9
	;; [unrolled: 1-line block ×3, first 2 shown]
	s_wait_dscnt 0x8
	v_add_f32_e32 v16, v2, v16
	v_cmp_gt_i32_e64 s10, 32, v45
	v_cndmask_b32_e64 v2, -v49, v49, s9
	s_wait_dscnt 0x4
	v_dual_add_f32 v21, v21, v52 :: v_dual_add_f32 v22, v22, v46
	v_add_f32_e32 v24, v24, v48
	v_cndmask_b32_e64 v45, v4, v45, s10
	s_wait_dscnt 0x3
	v_add_f32_e32 v17, v17, v47
	v_cndmask_b32_e64 v18, -v18, v18, s9
	v_cndmask_b32_e64 v19, -v19, v19, s9
	ds_bpermute_b32 v46, v1, v20
	ds_bpermute_b32 v47, v1, v29
	;; [unrolled: 1-line block ×3, first 2 shown]
	v_cndmask_b32_e64 v20, -v20, v20, s9
	s_wait_dscnt 0x5
	v_dual_add_f32 v23, v2, v23 :: v_dual_lshlrev_b32 v2, 2, v45
	s_wait_dscnt 0x3
	v_dual_add_f32 v18, v18, v43 :: v_dual_add_f32 v19, v19, v50
	v_cndmask_b32_e64 v29, -v29, v29, s9
	v_cndmask_b32_e64 v30, -v30, v30, s9
	ds_bpermute_b32 v45, v2, v27
	ds_bpermute_b32 v50, v2, v28
	v_dual_add_f32 v10, v10, v51 :: v_dual_and_b32 v43, 2, v0
	ds_bpermute_b32 v49, v1, v25
	ds_bpermute_b32 v51, v2, v26
	;; [unrolled: 1-line block ×3, first 2 shown]
	v_cmp_eq_u32_e64 s10, 0, v43
	ds_bpermute_b32 v43, v2, v7
	v_cndmask_b32_e64 v25, -v25, v25, s9
	s_wait_dscnt 0x7
	v_dual_add_f32 v20, v20, v46 :: v_dual_add_f32 v29, v29, v47
	s_wait_dscnt 0x6
	v_add_f32_e32 v30, v30, v48
	s_wait_alu 0xf1ff
	v_cndmask_b32_e64 v27, -v27, v27, s10
	v_cndmask_b32_e64 v28, -v28, v28, s10
	ds_bpermute_b32 v47, v2, v3
	ds_bpermute_b32 v48, v2, v8
	;; [unrolled: 1-line block ×3, first 2 shown]
	v_cndmask_b32_e64 v6, -v6, v6, s10
	v_cndmask_b32_e64 v26, -v26, v26, s10
	s_wait_dscnt 0x7
	v_dual_add_f32 v27, v27, v45 :: v_dual_add_f32 v28, v28, v50
	ds_bpermute_b32 v45, v2, v44
	ds_bpermute_b32 v50, v2, v13
	v_cndmask_b32_e64 v31, -v31, v31, s10
	v_cndmask_b32_e64 v7, -v7, v7, s10
	;; [unrolled: 1-line block ×4, first 2 shown]
	ds_bpermute_b32 v52, v2, v5
	s_wait_dscnt 0x8
	v_dual_add_f32 v25, v25, v49 :: v_dual_add_f32 v26, v26, v51
	ds_bpermute_b32 v49, v2, v32
	s_wait_dscnt 0x8
	v_add_f32_e32 v31, v31, v53
	ds_bpermute_b32 v51, v2, v41
	ds_bpermute_b32 v53, v2, v14
	v_cndmask_b32_e64 v13, -v13, v13, s10
	s_wait_dscnt 0x7
	v_add_f32_e32 v8, v8, v48
	v_cndmask_b32_e64 v14, -v14, v14, s10
	v_add_f32_e32 v7, v7, v43
	ds_bpermute_b32 v48, v2, v10
	v_cndmask_b32_e64 v10, -v10, v10, s10
	v_add_f32_e32 v43, v3, v47
	v_cndmask_b32_e64 v3, -v44, v44, s10
	ds_bpermute_b32 v44, v2, v42
	s_wait_dscnt 0x8
	v_add_f32_e32 v6, v6, v46
	ds_bpermute_b32 v46, v2, v9
	s_wait_dscnt 0x7
	v_add_f32_e32 v13, v13, v50
	ds_bpermute_b32 v50, v2, v12
	v_cndmask_b32_e64 v12, -v12, v12, s10
	v_add_f32_e32 v45, v3, v45
	v_cndmask_b32_e64 v3, -v42, v42, s10
	ds_bpermute_b32 v42, v2, v16
	ds_bpermute_b32 v47, v2, v11
	v_cndmask_b32_e64 v5, -v5, v5, s10
	v_cndmask_b32_e64 v32, -v32, v32, s10
	;; [unrolled: 1-line block ×4, first 2 shown]
	s_wait_dscnt 0x6
	v_dual_add_f32 v14, v14, v53 :: v_dual_add_f32 v5, v5, v52
	v_add_f32_e32 v32, v32, v49
	ds_bpermute_b32 v52, v2, v15
	ds_bpermute_b32 v49, v2, v21
	v_cndmask_b32_e64 v11, -v11, v11, s10
	s_wait_dscnt 0x6
	v_add_f32_e32 v44, v3, v44
	v_cndmask_b32_e64 v3, -v16, v16, s10
	v_add_f32_e32 v41, v41, v51
	ds_bpermute_b32 v51, v2, v22
	v_cndmask_b32_e64 v16, -v22, v22, s10
	ds_bpermute_b32 v22, v2, v23
	ds_bpermute_b32 v53, v2, v24
	v_add_f32_e32 v10, v10, v48
	v_cndmask_b32_e64 v24, -v24, v24, s10
	s_wait_dscnt 0x8
	v_add_f32_e32 v9, v9, v46
	ds_bpermute_b32 v46, v2, v18
	s_wait_dscnt 0x7
	v_add_f32_e32 v42, v3, v42
	v_cndmask_b32_e64 v3, -v23, v23, s10
	v_xor_b32_e32 v23, 4, v4
	ds_bpermute_b32 v48, v2, v20
	v_cndmask_b32_e64 v18, -v18, v18, s10
	s_wait_dscnt 0x7
	v_add_f32_e32 v11, v11, v47
	ds_bpermute_b32 v47, v2, v19
	v_cmp_gt_i32_e64 s11, 32, v23
	v_cndmask_b32_e64 v15, -v15, v15, s10
	v_cndmask_b32_e64 v21, -v21, v21, s10
	v_add_f32_e32 v12, v12, v50
	ds_bpermute_b32 v50, v2, v30
	s_wait_alu 0xf1ff
	v_cndmask_b32_e64 v23, v4, v23, s11
	s_wait_dscnt 0x6
	v_dual_add_f32 v15, v15, v52 :: v_dual_add_f32 v16, v16, v51
	ds_bpermute_b32 v52, v2, v17
	s_wait_dscnt 0x6
	v_dual_add_f32 v21, v21, v49 :: v_dual_add_f32 v22, v3, v22
	ds_bpermute_b32 v49, v2, v29
	v_cndmask_b32_e64 v20, -v20, v20, s10
	v_lshlrev_b32_e32 v3, 2, v23
	v_cndmask_b32_e64 v19, -v19, v19, s10
	ds_bpermute_b32 v51, v2, v25
	s_wait_dscnt 0x6
	v_add_f32_e32 v18, v18, v46
	s_wait_dscnt 0x5
	v_add_f32_e32 v20, v20, v48
	ds_bpermute_b32 v46, v3, v27
	s_wait_dscnt 0x5
	v_add_f32_e32 v19, v19, v47
	v_cndmask_b32_e64 v23, -v29, v29, s10
	v_cndmask_b32_e64 v29, -v30, v30, s10
	v_and_b32_e32 v30, 4, v0
	v_cndmask_b32_e64 v17, -v17, v17, s10
	v_add_f32_e32 v24, v24, v53
	v_cndmask_b32_e64 v25, -v25, v25, s10
	ds_bpermute_b32 v47, v3, v28
	v_cmp_eq_u32_e64 s11, 0, v30
	ds_bpermute_b32 v53, v3, v5
	ds_bpermute_b32 v54, v3, v31
	;; [unrolled: 1-line block ×3, first 2 shown]
	s_wait_alu 0xf1ff
	v_cndmask_b32_e64 v27, -v27, v27, s11
	v_cndmask_b32_e64 v28, -v28, v28, s11
	s_wait_dscnt 0x7
	v_add_f32_e32 v17, v17, v52
	ds_bpermute_b32 v52, v3, v26
	v_cndmask_b32_e64 v26, -v26, v26, s11
	s_wait_dscnt 0x7
	v_add_f32_e32 v23, v23, v49
	v_cndmask_b32_e64 v30, -v31, v31, s11
	ds_bpermute_b32 v31, v3, v7
	ds_bpermute_b32 v49, v3, v43
	v_cndmask_b32_e64 v6, -v6, v6, s11
	v_add_f32_e32 v29, v29, v50
	ds_bpermute_b32 v50, v3, v8
	s_wait_dscnt 0x9
	v_add_f32_e32 v25, v25, v51
	ds_bpermute_b32 v51, v3, v32
	v_cndmask_b32_e64 v32, -v32, v32, s11
	s_wait_dscnt 0x9
	v_add_f32_e32 v27, v27, v46
	ds_bpermute_b32 v46, v3, v45
	v_cndmask_b32_e64 v5, -v5, v5, s11
	v_cndmask_b32_e64 v7, -v7, v7, s11
	;; [unrolled: 1-line block ×4, first 2 shown]
	s_wait_dscnt 0x7
	v_dual_add_f32 v30, v30, v54 :: v_dual_add_f32 v5, v5, v53
	ds_bpermute_b32 v54, v3, v14
	v_cndmask_b32_e64 v14, -v14, v14, s11
	v_add_f32_e32 v28, v28, v47
	ds_bpermute_b32 v47, v3, v13
	s_wait_dscnt 0x6
	v_dual_add_f32 v7, v7, v31 :: v_dual_add_f32 v6, v6, v48
	ds_bpermute_b32 v48, v3, v9
	v_add_f32_e32 v26, v26, v52
	s_wait_dscnt 0x5
	v_add_f32_e32 v8, v8, v50
	ds_bpermute_b32 v50, v3, v10
	v_cndmask_b32_e64 v10, -v10, v10, s11
	v_add_f32_e32 v31, v43, v49
	v_cndmask_b32_e64 v43, -v45, v45, s11
	ds_bpermute_b32 v45, v3, v44
	ds_bpermute_b32 v49, v3, v11
	v_cndmask_b32_e64 v44, -v44, v44, s11
	ds_bpermute_b32 v52, v3, v41
	s_wait_dscnt 0x7
	v_add_f32_e32 v43, v43, v46
	ds_bpermute_b32 v46, v3, v42
	ds_bpermute_b32 v53, v3, v15
	v_add_f32_e32 v32, v32, v51
	v_cndmask_b32_e64 v13, -v13, v13, s11
	ds_bpermute_b32 v51, v3, v21
	v_cndmask_b32_e64 v9, -v9, v9, s11
	v_cndmask_b32_e64 v11, -v11, v11, s11
	;; [unrolled: 1-line block ×5, first 2 shown]
	s_wait_dscnt 0x8
	v_dual_add_f32 v13, v13, v47 :: v_dual_add_f32 v14, v14, v54
	ds_bpermute_b32 v47, v3, v12
	ds_bpermute_b32 v54, v3, v24
	v_cndmask_b32_e64 v24, -v24, v24, s11
	s_wait_dscnt 0x7
	v_add_f32_e32 v44, v44, v45
	ds_bpermute_b32 v45, v3, v22
	v_add_f32_e32 v9, v9, v48
	ds_bpermute_b32 v48, v3, v18
	v_cndmask_b32_e64 v18, -v18, v18, s11
	s_wait_dscnt 0x8
	v_add_f32_e32 v11, v11, v49
	ds_bpermute_b32 v49, v3, v19
	s_wait_dscnt 0x7
	v_add_f32_e32 v42, v42, v46
	v_xor_b32_e32 v46, 8, v4
	v_cndmask_b32_e64 v12, -v12, v12, s11
	v_add_f32_e32 v41, v41, v52
	ds_bpermute_b32 v52, v3, v16
	v_cndmask_b32_e64 v16, -v16, v16, s11
	s_wait_dscnt 0x7
	v_add_f32_e32 v15, v15, v53
	ds_bpermute_b32 v53, v3, v17
	v_cmp_gt_i32_e64 s12, 32, v46
	v_cndmask_b32_e64 v21, -v21, v21, s11
	v_cndmask_b32_e64 v22, -v22, v22, s11
	;; [unrolled: 1-line block ×4, first 2 shown]
	v_cndmask_b32_e64 v46, v4, v46, s12
	s_wait_dscnt 0x4
	v_dual_add_f32 v21, v21, v51 :: v_dual_add_f32 v22, v22, v45
	v_add_f32_e32 v12, v12, v47
	ds_bpermute_b32 v47, v3, v20
	v_lshlrev_b32_e32 v45, 2, v46
	v_cndmask_b32_e64 v20, -v20, v20, s11
	s_wait_dscnt 0x3
	v_dual_add_f32 v19, v19, v49 :: v_dual_and_b32 v46, 8, v0
	v_add_f32_e32 v10, v10, v50
	ds_bpermute_b32 v49, v45, v28
	ds_bpermute_b32 v50, v3, v23
	;; [unrolled: 1-line block ×3, first 2 shown]
	v_cmp_eq_u32_e64 s12, 0, v46
	s_wait_dscnt 0x4
	v_dual_add_f32 v17, v17, v53 :: v_dual_add_f32 v18, v18, v48
	v_add_f32_e32 v16, v16, v52
	v_add_f32_e32 v24, v24, v54
	s_wait_alu 0xf1ff
	v_cndmask_b32_e64 v28, -v28, v28, s12
	ds_bpermute_b32 v52, v3, v25
	v_cndmask_b32_e64 v23, -v23, v23, s11
	v_cndmask_b32_e64 v29, -v29, v29, s11
	;; [unrolled: 1-line block ×3, first 2 shown]
	s_wait_dscnt 0x4
	v_add_f32_e32 v20, v20, v47
	s_wait_dscnt 0x3
	v_add_f32_e32 v28, v28, v49
	ds_bpermute_b32 v48, v45, v27
	ds_bpermute_b32 v54, v45, v5
	;; [unrolled: 1-line block ×6, first 2 shown]
	v_cndmask_b32_e64 v27, -v27, v27, s12
	v_cndmask_b32_e64 v26, -v26, v26, s12
	s_wait_dscnt 0x8
	v_add_f32_e32 v23, v23, v50
	ds_bpermute_b32 v50, v45, v31
	v_cndmask_b32_e64 v7, -v7, v7, s12
	s_wait_dscnt 0x8
	v_add_f32_e32 v29, v29, v51
	ds_bpermute_b32 v51, v45, v8
	v_cndmask_b32_e64 v8, -v8, v8, s12
	ds_bpermute_b32 v49, v45, v13
	v_cndmask_b32_e64 v5, -v5, v5, s12
	v_cndmask_b32_e64 v30, -v30, v30, s12
	;; [unrolled: 1-line block ×3, first 2 shown]
	s_wait_dscnt 0x9
	v_add_f32_e32 v25, v25, v52
	ds_bpermute_b32 v52, v45, v32
	s_wait_dscnt 0x9
	v_add_f32_e32 v27, v27, v48
	ds_bpermute_b32 v48, v45, v43
	s_wait_dscnt 0x8
	v_add_f32_e32 v30, v30, v55
	v_cndmask_b32_e64 v32, -v32, v32, s12
	v_add_f32_e32 v5, v5, v54
	ds_bpermute_b32 v54, v45, v15
	ds_bpermute_b32 v55, v45, v14
	s_wait_dscnt 0x9
	v_add_f32_e32 v46, v7, v46
	v_cndmask_b32_e64 v7, -v13, v13, s12
	v_cndmask_b32_e64 v13, -v15, v15, s12
	s_wait_dscnt 0x8
	v_add_f32_e32 v47, v6, v47
	v_cndmask_b32_e64 v6, -v43, v43, s12
	ds_bpermute_b32 v43, v45, v11
	s_wait_dscnt 0x8
	v_add_f32_e32 v26, v26, v53
	v_cndmask_b32_e64 v31, -v31, v31, s12
	ds_bpermute_b32 v53, v45, v41
	ds_bpermute_b32 v15, v45, v44
	v_cndmask_b32_e64 v14, -v14, v14, s12
	v_cndmask_b32_e64 v11, -v11, v11, s12
	s_wait_dscnt 0x8
	v_dual_add_f32 v31, v31, v50 :: v_dual_add_f32 v50, v8, v51
	v_cndmask_b32_e64 v8, -v41, v41, s12
	ds_bpermute_b32 v41, v45, v9
	ds_bpermute_b32 v51, v45, v10
	s_wait_dscnt 0x7
	v_add_f32_e32 v48, v6, v48
	v_cndmask_b32_e64 v6, -v44, v44, s12
	v_add_f32_e32 v49, v7, v49
	v_cndmask_b32_e64 v7, -v9, v9, s12
	ds_bpermute_b32 v9, v45, v12
	ds_bpermute_b32 v44, v45, v24
	v_add_f32_e32 v32, v32, v52
	ds_bpermute_b32 v52, v45, v21
	s_wait_dscnt 0x7
	v_add_f32_e32 v43, v11, v43
	v_cndmask_b32_e64 v11, -v12, v12, s12
	v_add_f32_e32 v55, v14, v55
	ds_bpermute_b32 v14, v45, v17
	v_add_f32_e32 v54, v13, v54
	ds_bpermute_b32 v13, v45, v16
	v_cndmask_b32_e64 v10, -v10, v10, s12
	v_cndmask_b32_e64 v21, -v21, v21, s12
	s_wait_dscnt 0x8
	v_add_f32_e32 v53, v8, v53
	ds_bpermute_b32 v8, v45, v42
	s_wait_dscnt 0x8
	v_add_f32_e32 v56, v6, v15
	v_cndmask_b32_e64 v6, -v42, v42, s12
	s_wait_dscnt 0x7
	v_add_f32_e32 v41, v7, v41
	ds_bpermute_b32 v7, v45, v22
	v_cndmask_b32_e64 v15, -v17, v17, s12
	s_wait_dscnt 0x7
	v_add_f32_e32 v51, v10, v51
	ds_bpermute_b32 v10, v45, v18
	s_wait_dscnt 0x7
	v_add_f32_e32 v42, v11, v9
	v_xor_b32_e32 v9, 16, v4
	v_cndmask_b32_e64 v12, -v16, v16, s12
	v_cndmask_b32_e64 v16, -v24, v24, s12
	ds_bpermute_b32 v11, v45, v20
	s_wait_dscnt 0x6
	v_add_f32_e32 v52, v21, v52
	v_cmp_gt_i32_e64 s13, 32, v9
	s_wait_dscnt 0x5
	v_add_f32_e32 v58, v15, v14
	ds_bpermute_b32 v14, v45, v29
	v_add_f32_e32 v44, v16, v44
	s_wait_alu 0xf1ff
	v_cndmask_b32_e64 v4, v4, v9, s13
	s_wait_dscnt 0x4
	v_dual_add_f32 v24, v6, v8 :: v_dual_add_f32 v57, v12, v13
	v_cndmask_b32_e64 v6, -v22, v22, s12
	ds_bpermute_b32 v8, v45, v19
	v_cndmask_b32_e64 v12, -v18, v18, s12
	ds_bpermute_b32 v13, v45, v23
	s_wait_dscnt 0x5
	v_dual_add_f32 v59, v6, v7 :: v_dual_lshlrev_b32 v4, 2, v4
	v_cndmask_b32_e64 v6, -v19, v19, s12
	s_wait_dscnt 0x4
	v_add_f32_e32 v60, v12, v10
	ds_bpermute_b32 v12, v45, v25
	ds_bpermute_b32 v17, v4, v28
	;; [unrolled: 1-line block ×3, first 2 shown]
	v_cndmask_b32_e64 v10, -v29, v29, s12
	v_and_b32_e32 v15, 16, v0
	v_cndmask_b32_e64 v9, -v23, v23, s12
	ds_bpermute_b32 v16, v4, v27
	ds_bpermute_b32 v18, v4, v26
	s_wait_dscnt 0x7
	v_add_f32_e32 v62, v10, v14
	v_cmp_eq_u32_e64 s13, 0, v15
	v_cndmask_b32_e64 v7, -v20, v20, s12
	ds_bpermute_b32 v20, v4, v50
	ds_bpermute_b32 v14, v4, v47
	s_wait_dscnt 0x8
	v_add_f32_e32 v29, v6, v8
	v_cndmask_b32_e64 v6, -v25, v25, s12
	s_wait_alu 0xf1ff
	v_cndmask_b32_e64 v8, -v28, v28, s13
	v_cndmask_b32_e64 v10, -v5, v5, s13
	s_wait_dscnt 0x7
	v_add_f32_e32 v61, v9, v13
	ds_bpermute_b32 v13, v4, v46
	ds_bpermute_b32 v15, v4, v31
	s_wait_dscnt 0x7
	v_dual_add_f32 v63, v6, v12 :: v_dual_add_f32 v6, v8, v17
	s_wait_dscnt 0x6
	v_add_f32_e32 v8, v10, v19
	v_cndmask_b32_e64 v10, -v46, v46, s13
	v_add_f32_e32 v45, v7, v11
	ds_bpermute_b32 v11, v4, v30
	ds_bpermute_b32 v22, v4, v53
	v_cndmask_b32_e64 v7, -v27, v27, s13
	v_cndmask_b32_e64 v9, -v26, v26, s13
	ds_bpermute_b32 v21, v4, v49
	v_cndmask_b32_e64 v17, -v50, v50, s13
	ds_bpermute_b32 v19, v4, v48
	s_wait_dscnt 0x9
	v_add_f32_e32 v5, v7, v16
	s_wait_dscnt 0x8
	v_add_f32_e32 v7, v9, v18
	ds_bpermute_b32 v18, v4, v32
	ds_bpermute_b32 v23, v4, v54
	v_cndmask_b32_e64 v9, -v30, v30, s13
	v_cndmask_b32_e64 v12, -v47, v47, s13
	;; [unrolled: 1-line block ×3, first 2 shown]
	s_wait_dscnt 0x7
	v_dual_add_f32 v10, v10, v13 :: v_dual_add_f32 v13, v17, v20
	v_cndmask_b32_e64 v17, -v53, v53, s13
	ds_bpermute_b32 v25, v4, v55
	ds_bpermute_b32 v26, v4, v56
	;; [unrolled: 1-line block ×3, first 2 shown]
	s_wait_dscnt 0x8
	v_add_f32_e32 v9, v9, v11
	ds_bpermute_b32 v28, v4, v43
	s_wait_dscnt 0x8
	v_add_f32_e32 v17, v17, v22
	v_cndmask_b32_e64 v22, -v43, v43, s13
	v_add_f32_e32 v11, v12, v14
	v_add_f32_e32 v12, v16, v15
	v_cndmask_b32_e64 v14, -v32, v32, s13
	v_cndmask_b32_e64 v16, -v49, v49, s13
	ds_bpermute_b32 v31, v4, v52
	ds_bpermute_b32 v32, v4, v24
	v_cndmask_b32_e64 v15, -v48, v48, s13
	v_cndmask_b32_e64 v20, -v54, v54, s13
	ds_bpermute_b32 v30, v4, v51
	s_wait_dscnt 0xa
	v_add_f32_e32 v16, v16, v21
	v_cndmask_b32_e64 v21, -v41, v41, s13
	ds_bpermute_b32 v41, v4, v42
	ds_bpermute_b32 v43, v4, v57
	;; [unrolled: 1-line block ×3, first 2 shown]
	s_wait_dscnt 0xb
	v_add_f32_e32 v14, v14, v18
	s_wait_dscnt 0xa
	v_add_f32_e32 v18, v20, v23
	v_cndmask_b32_e64 v20, -v56, v56, s13
	v_cndmask_b32_e64 v50, -v58, v58, s13
	v_add_f32_e32 v15, v15, v19
	v_cndmask_b32_e64 v19, -v55, v55, s13
	v_cndmask_b32_e64 v23, -v51, v51, s13
	s_wait_dscnt 0x8
	v_add_f32_e32 v20, v20, v26
	v_cndmask_b32_e64 v26, -v24, v24, s13
	s_wait_dscnt 0x6
	v_dual_add_f32 v22, v22, v28 :: v_dual_add_f32 v19, v19, v25
	v_cndmask_b32_e64 v25, -v52, v52, s13
	v_cndmask_b32_e64 v28, -v57, v57, s13
	ds_bpermute_b32 v47, v4, v60
	ds_bpermute_b32 v48, v4, v29
	;; [unrolled: 1-line block ×3, first 2 shown]
	s_wait_dscnt 0x7
	v_dual_add_f32 v24, v25, v31 :: v_dual_add_f32 v25, v26, v32
	v_cndmask_b32_e64 v32, -v59, v59, s13
	v_add_f32_e32 v21, v21, v27
	v_cndmask_b32_e64 v27, -v42, v42, s13
	ds_bpermute_b32 v42, v4, v59
	v_cndmask_b32_e64 v31, -v44, v44, s13
	v_cndmask_b32_e64 v45, -v45, v45, s13
	s_wait_dscnt 0x5
	v_dual_add_f32 v26, v27, v41 :: v_dual_add_f32 v27, v28, v43
	s_wait_dscnt 0x4
	v_add_f32_e32 v28, v50, v46
	v_cndmask_b32_e64 v46, -v29, v29, s13
	v_add_f32_e32 v23, v23, v30
	ds_bpermute_b32 v30, v4, v44
	ds_bpermute_b32 v43, v4, v61
	;; [unrolled: 1-line block ×4, first 2 shown]
	v_cndmask_b32_e64 v41, -v60, v60, s13
	s_wait_dscnt 0x3
	v_add_f32_e32 v29, v31, v30
	s_delay_alu instid0(VALU_DEP_2)
	v_dual_add_f32 v30, v32, v42 :: v_dual_add_f32 v31, v41, v47
	v_dual_add_f32 v32, v46, v48 :: v_dual_add_f32 v41, v45, v49
	v_lshrrev_b32_e32 v42, 5, v0
	v_and_b32_e32 v45, 7, v0
	v_lshrrev_b32_e32 v46, 3, v0
	v_cndmask_b32_e64 v47, -v61, v61, s13
	v_cndmask_b32_e64 v48, -v62, v62, s13
	;; [unrolled: 1-line block ×3, first 2 shown]
	v_xor_b32_e32 v0, v42, v0
	v_lshl_or_b32 v46, v45, 5, v46
	s_wait_dscnt 0x1
	v_dual_add_f32 v42, v47, v43 :: v_dual_add_f32 v43, v48, v44
	s_wait_dscnt 0x0
	v_add_f32_e32 v44, v49, v4
	v_lshl_add_u32 v4, v0, 4, 0
	v_xor_b32_e32 v0, v46, v45
	ds_store_b128 v4, v[5:8]
	ds_store_b128 v4, v[9:12] offset:4096
	ds_store_b128 v4, v[13:16] offset:8192
	;; [unrolled: 1-line block ×7, first 2 shown]
	v_lshl_add_u32 v0, v0, 4, 0
	s_wait_loadcnt_dscnt 0x0
	s_barrier_signal -1
	s_barrier_wait -1
	global_inv scope:SCOPE_SE
	ds_load_b128 v[5:8], v0
	ds_load_b128 v[9:12], v0 offset:4096
	ds_load_b128 v[13:16], v0 offset:8192
	;; [unrolled: 1-line block ×7, first 2 shown]
	s_wait_loadcnt_dscnt 0x0
	s_barrier_signal -1
	s_barrier_wait -1
	global_inv scope:SCOPE_SE
	ds_bpermute_b32 v46, v1, v6
	ds_bpermute_b32 v47, v1, v7
	;; [unrolled: 1-line block ×5, first 2 shown]
	v_cndmask_b32_e64 v6, -v6, v6, s9
	v_cndmask_b32_e64 v7, -v7, v7, s9
	;; [unrolled: 1-line block ×5, first 2 shown]
	ds_bpermute_b32 v45, v1, v5
	v_cndmask_b32_e64 v5, -v5, v5, s9
	ds_bpermute_b32 v52, v1, v13
	ds_bpermute_b32 v53, v1, v14
	;; [unrolled: 1-line block ×4, first 2 shown]
	v_cndmask_b32_e64 v13, -v13, v13, s9
	v_cndmask_b32_e64 v14, -v14, v14, s9
	;; [unrolled: 1-line block ×4, first 2 shown]
	s_wait_dscnt 0x9
	v_add_f32_e32 v6, v6, v46
	ds_bpermute_b32 v46, v1, v16
	s_wait_dscnt 0x8
	v_add_f32_e32 v8, v8, v48
	ds_bpermute_b32 v48, v1, v18
	;; [unrolled: 3-line block ×3, first 2 shown]
	v_cndmask_b32_e64 v18, -v18, v18, s9
	v_add_f32_e32 v7, v7, v47
	ds_bpermute_b32 v47, v1, v17
	v_cndmask_b32_e64 v20, -v20, v20, s9
	v_add_f32_e32 v9, v9, v49
	ds_bpermute_b32 v49, v1, v19
	v_cndmask_b32_e64 v16, -v16, v16, s9
	v_cndmask_b32_e64 v17, -v17, v17, s9
	;; [unrolled: 1-line block ×3, first 2 shown]
	s_wait_dscnt 0x9
	v_add_f32_e32 v5, v5, v45
	ds_bpermute_b32 v45, v1, v11
	s_wait_dscnt 0x8
	v_add_f32_e32 v14, v14, v53
	ds_bpermute_b32 v53, v1, v24
	v_cndmask_b32_e64 v24, -v24, v24, s9
	s_wait_dscnt 0x6
	v_dual_add_f32 v13, v13, v52 :: v_dual_add_f32 v16, v16, v46
	ds_bpermute_b32 v46, v1, v26
	v_cndmask_b32_e64 v26, -v26, v26, s9
	ds_bpermute_b32 v52, v1, v23
	s_wait_dscnt 0x6
	v_add_f32_e32 v20, v20, v50
	ds_bpermute_b32 v50, v1, v30
	v_cndmask_b32_e64 v30, -v30, v30, s9
	s_wait_dscnt 0x6
	v_add_f32_e32 v17, v17, v47
	ds_bpermute_b32 v47, v1, v27
	v_cndmask_b32_e64 v27, -v27, v27, s9
	;; [unrolled: 4-line block ×3, first 2 shown]
	v_add_f32_e32 v12, v12, v51
	ds_bpermute_b32 v51, v1, v22
	v_add_f32_e32 v18, v18, v48
	ds_bpermute_b32 v48, v1, v28
	v_cndmask_b32_e64 v28, -v28, v28, s9
	v_add_f32_e32 v15, v15, v54
	ds_bpermute_b32 v54, v1, v25
	v_cndmask_b32_e64 v11, -v11, v11, s9
	v_cndmask_b32_e64 v23, -v23, v23, s9
	;; [unrolled: 1-line block ×4, first 2 shown]
	s_wait_dscnt 0x8
	v_add_f32_e32 v24, v24, v53
	s_wait_dscnt 0x5
	v_add_f32_e32 v30, v30, v50
	ds_bpermute_b32 v50, v2, v10
	v_cndmask_b32_e64 v10, -v10, v10, s10
	v_add_f32_e32 v11, v11, v45
	ds_bpermute_b32 v45, v1, v21
	ds_bpermute_b32 v53, v1, v42
	s_wait_dscnt 0x6
	v_add_f32_e32 v29, v29, v49
	ds_bpermute_b32 v49, v2, v8
	v_cndmask_b32_e64 v8, -v8, v8, s10
	v_add_f32_e32 v27, v27, v47
	ds_bpermute_b32 v47, v2, v6
	v_cndmask_b32_e64 v42, -v42, v42, s9
	v_add_f32_e32 v23, v23, v52
	ds_bpermute_b32 v52, v1, v41
	v_cndmask_b32_e64 v6, -v6, v6, s10
	s_wait_dscnt 0x6
	v_dual_add_f32 v22, v22, v51 :: v_dual_add_f32 v25, v25, v54
	ds_bpermute_b32 v51, v1, v32
	v_add_f32_e32 v28, v28, v48
	ds_bpermute_b32 v48, v2, v7
	v_cndmask_b32_e64 v21, -v21, v21, s9
	v_cndmask_b32_e64 v41, -v41, v41, s9
	ds_bpermute_b32 v54, v1, v43
	v_add_f32_e32 v26, v26, v46
	v_cndmask_b32_e64 v32, -v32, v32, s9
	s_wait_dscnt 0x7
	v_add_f32_e32 v21, v21, v45
	ds_bpermute_b32 v45, v1, v31
	ds_bpermute_b32 v1, v1, v44
	;; [unrolled: 1-line block ×3, first 2 shown]
	v_cndmask_b32_e64 v7, -v7, v7, s10
	s_wait_dscnt 0x7
	v_add_f32_e32 v6, v6, v47
	ds_bpermute_b32 v47, v2, v16
	v_cndmask_b32_e64 v16, -v16, v16, s10
	s_wait_dscnt 0x7
	v_add_f32_e32 v41, v41, v52
	ds_bpermute_b32 v52, v2, v12
	v_add_f32_e32 v42, v42, v53
	ds_bpermute_b32 v53, v2, v13
	s_wait_dscnt 0x8
	v_add_f32_e32 v32, v32, v51
	ds_bpermute_b32 v51, v2, v11
	v_add_f32_e32 v8, v8, v49
	ds_bpermute_b32 v49, v2, v18
	v_add_f32_e32 v10, v10, v50
	ds_bpermute_b32 v50, v2, v20
	v_cndmask_b32_e64 v20, -v20, v20, s10
	s_wait_dscnt 0xa
	v_add_f32_e32 v7, v7, v48
	ds_bpermute_b32 v48, v2, v17
	v_cndmask_b32_e64 v31, -v31, v31, s9
	v_cndmask_b32_e64 v44, -v44, v44, s9
	;; [unrolled: 1-line block ×5, first 2 shown]
	s_wait_dscnt 0x6
	v_add_f32_e32 v16, v16, v47
	ds_bpermute_b32 v47, v2, v26
	s_wait_dscnt 0x6
	v_dual_add_f32 v31, v31, v45 :: v_dual_add_f32 v12, v12, v52
	ds_bpermute_b32 v45, v2, v9
	v_cndmask_b32_e64 v13, -v13, v13, s10
	v_cndmask_b32_e64 v17, -v17, v17, s10
	;; [unrolled: 1-line block ×3, first 2 shown]
	v_add_f32_e32 v5, v5, v46
	ds_bpermute_b32 v52, v2, v22
	v_cndmask_b32_e64 v22, -v22, v22, s10
	v_add_f32_e32 v1, v44, v1
	ds_bpermute_b32 v44, v2, v14
	v_cndmask_b32_e64 v26, -v26, v26, s10
	ds_bpermute_b32 v46, v2, v15
	s_wait_dscnt 0x9
	v_add_f32_e32 v13, v13, v53
	s_wait_dscnt 0x7
	v_add_f32_e32 v18, v18, v49
	ds_bpermute_b32 v49, v2, v28
	s_wait_dscnt 0x7
	v_add_f32_e32 v20, v20, v50
	v_cndmask_b32_e64 v28, -v28, v28, s10
	v_add_f32_e32 v11, v11, v51
	ds_bpermute_b32 v51, v2, v21
	ds_bpermute_b32 v50, v2, v30
	s_wait_dscnt 0x7
	v_add_f32_e32 v26, v26, v47
	v_cndmask_b32_e64 v30, -v30, v30, s10
	v_add_f32_e32 v17, v17, v48
	ds_bpermute_b32 v48, v2, v27
	ds_bpermute_b32 v47, v3, v5
	v_cndmask_b32_e64 v43, -v43, v43, s9
	v_cndmask_b32_e64 v9, -v9, v9, s10
	;; [unrolled: 1-line block ×5, first 2 shown]
	v_add_f32_e32 v43, v43, v54
	v_cndmask_b32_e64 v27, -v27, v27, s10
	s_wait_dscnt 0x6
	v_add_f32_e32 v14, v14, v44
	ds_bpermute_b32 v44, v2, v24
	v_cndmask_b32_e64 v24, -v24, v24, s10
	v_add_f32_e32 v9, v9, v45
	ds_bpermute_b32 v45, v2, v19
	v_cndmask_b32_e64 v5, -v5, v5, s11
	;; [unrolled: 3-line block ×3, first 2 shown]
	s_wait_dscnt 0x8
	v_add_f32_e32 v15, v15, v46
	ds_bpermute_b32 v46, v2, v25
	ds_bpermute_b32 v53, v2, v23
	s_wait_dscnt 0x5
	v_add_f32_e32 v5, v5, v47
	ds_bpermute_b32 v47, v3, v14
	v_cndmask_b32_e64 v14, -v14, v14, s11
	v_add_f32_e32 v27, v27, v48
	ds_bpermute_b32 v48, v3, v6
	v_cndmask_b32_e64 v6, -v6, v6, s11
	;; [unrolled: 3-line block ×3, first 2 shown]
	v_cndmask_b32_e64 v25, -v25, v25, s10
	s_wait_dscnt 0x7
	v_add_f32_e32 v24, v24, v44
	v_cndmask_b32_e64 v31, -v31, v31, s10
	ds_bpermute_b32 v44, v2, v42
	v_cndmask_b32_e64 v42, -v42, v42, s10
	s_wait_dscnt 0x7
	v_add_f32_e32 v19, v19, v45
	ds_bpermute_b32 v45, v2, v29
	v_add_f32_e32 v28, v28, v49
	ds_bpermute_b32 v49, v3, v8
	v_cndmask_b32_e64 v8, -v8, v8, s11
	s_wait_dscnt 0x7
	v_add_f32_e32 v25, v25, v46
	ds_bpermute_b32 v46, v2, v43
	v_cndmask_b32_e64 v23, -v23, v23, s10
	v_cndmask_b32_e64 v29, -v29, v29, s10
	;; [unrolled: 1-line block ×3, first 2 shown]
	v_add_f32_e32 v30, v30, v50
	v_add_f32_e32 v32, v32, v52
	ds_bpermute_b32 v50, v3, v9
	s_wait_dscnt 0x5
	v_add_f32_e32 v31, v31, v51
	ds_bpermute_b32 v51, v3, v10
	v_cndmask_b32_e64 v10, -v10, v10, s11
	v_add_f32_e32 v23, v23, v53
	ds_bpermute_b32 v53, v2, v41
	ds_bpermute_b32 v2, v2, v1
	s_wait_dscnt 0x7
	v_add_f32_e32 v42, v42, v44
	ds_bpermute_b32 v44, v3, v12
	s_wait_dscnt 0x7
	v_add_f32_e32 v29, v29, v45
	ds_bpermute_b32 v45, v3, v7
	ds_bpermute_b32 v52, v3, v11
	s_wait_dscnt 0x8
	v_add_f32_e32 v8, v8, v49
	ds_bpermute_b32 v49, v3, v18
	v_cndmask_b32_e64 v18, -v18, v18, s11
	s_wait_dscnt 0x8
	v_add_f32_e32 v43, v43, v46
	ds_bpermute_b32 v46, v3, v13
	v_cndmask_b32_e64 v1, -v1, v1, s10
	v_cndmask_b32_e64 v41, -v41, v41, s10
	;; [unrolled: 1-line block ×5, first 2 shown]
	s_wait_dscnt 0x7
	v_add_f32_e32 v10, v10, v51
	ds_bpermute_b32 v51, v3, v20
	v_add_f32_e32 v14, v14, v47
	v_cndmask_b32_e64 v20, -v20, v20, s11
	s_wait_dscnt 0x6
	v_add_f32_e32 v1, v1, v2
	v_cndmask_b32_e64 v2, -v7, v7, s11
	ds_bpermute_b32 v47, v3, v24
	v_cndmask_b32_e64 v24, -v24, v24, s11
	v_dual_add_f32 v41, v41, v53 :: v_dual_add_f32 v6, v6, v48
	s_wait_dscnt 0x5
	v_add_f32_e32 v7, v2, v45
	v_cndmask_b32_e64 v2, -v12, v12, s11
	ds_bpermute_b32 v45, v3, v17
	ds_bpermute_b32 v48, v3, v15
	;; [unrolled: 1-line block ×3, first 2 shown]
	s_wait_dscnt 0x5
	v_dual_add_f32 v13, v13, v46 :: v_dual_add_f32 v12, v2, v44
	ds_bpermute_b32 v44, v3, v22
	ds_bpermute_b32 v46, v3, v23
	v_add_f32_e32 v18, v18, v49
	ds_bpermute_b32 v49, v3, v28
	s_wait_dscnt 0x7
	v_add_f32_e32 v20, v20, v51
	ds_bpermute_b32 v51, v3, v30
	v_cndmask_b32_e64 v28, -v28, v28, s11
	v_add_f32_e32 v9, v9, v50
	ds_bpermute_b32 v50, v3, v19
	v_cndmask_b32_e64 v30, -v30, v30, s11
	v_add_f32_e32 v11, v11, v52
	ds_bpermute_b32 v52, v3, v21
	v_cndmask_b32_e64 v2, -v17, v17, s11
	v_cndmask_b32_e64 v15, -v15, v15, s11
	v_cndmask_b32_e64 v16, -v16, v16, s11
	;; [unrolled: 1-line block ×4, first 2 shown]
	s_wait_dscnt 0x8
	v_add_f32_e32 v17, v2, v45
	v_cndmask_b32_e64 v2, -v22, v22, s11
	v_cndmask_b32_e64 v23, -v23, v23, s11
	s_wait_dscnt 0x6
	v_add_f32_e32 v16, v16, v53
	ds_bpermute_b32 v53, v3, v26
	ds_bpermute_b32 v45, v3, v27
	s_wait_dscnt 0x6
	v_dual_add_f32 v22, v2, v44 :: v_dual_add_f32 v23, v23, v46
	ds_bpermute_b32 v2, v3, v32
	ds_bpermute_b32 v46, v3, v42
	v_cndmask_b32_e64 v32, -v32, v32, s11
	v_add_f32_e32 v15, v15, v48
	ds_bpermute_b32 v48, v3, v25
	s_wait_dscnt 0x6
	v_add_f32_e32 v19, v19, v50
	ds_bpermute_b32 v50, v3, v29
	v_cndmask_b32_e64 v42, -v42, v42, s11
	s_wait_dscnt 0x6
	v_add_f32_e32 v21, v21, v52
	ds_bpermute_b32 v52, v3, v31
	v_add_f32_e32 v24, v24, v47
	ds_bpermute_b32 v44, v3, v41
	ds_bpermute_b32 v47, v3, v43
	;; [unrolled: 1-line block ×3, first 2 shown]
	v_cndmask_b32_e64 v25, -v25, v25, s11
	v_cndmask_b32_e64 v26, -v26, v26, s11
	;; [unrolled: 1-line block ×8, first 2 shown]
	s_wait_dscnt 0x9
	v_add_f32_e32 v26, v26, v53
	s_wait_dscnt 0x8
	v_add_f32_e32 v27, v27, v45
	s_wait_dscnt 0x5
	v_dual_add_f32 v25, v25, v48 :: v_dual_add_f32 v28, v28, v49
	s_wait_dscnt 0x4
	v_dual_add_f32 v29, v29, v50 :: v_dual_add_f32 v30, v30, v51
	;; [unrolled: 2-line block ×4, first 2 shown]
	s_wait_dscnt 0x1
	v_add_f32_e32 v43, v43, v47
	s_wait_dscnt 0x0
	v_add_f32_e32 v44, v1, v3
	ds_store_b128 v0, v[5:8]
	ds_store_b128 v0, v[9:12] offset:4096
	ds_store_b128 v0, v[13:16] offset:8192
	;; [unrolled: 1-line block ×7, first 2 shown]
	s_wait_loadcnt_dscnt 0x0
	s_barrier_signal -1
	s_barrier_wait -1
	global_inv scope:SCOPE_SE
	ds_load_b128 v[24:27], v4
	ds_load_b128 v[28:31], v4 offset:4096
	ds_load_b128 v[16:19], v4 offset:8192
	;; [unrolled: 1-line block ×7, first 2 shown]
	s_load_b32 s9, s[0:1], 0x20
	s_mul_u64 s[0:1], s[18:19], s[20:21]
	s_delay_alu instid0(SALU_CYCLE_1) | instskip(NEXT) | instid1(SALU_CYCLE_1)
	s_lshl_b64 s[0:1], s[0:1], 2
	s_add_nc_u64 s[0:1], s[14:15], s[0:1]
	s_wait_dscnt 0x6
	v_add_f32_e32 v48, v24, v28
	v_add_f32_e32 v50, v26, v30
	s_wait_dscnt 0x4
	v_add_f32_e32 v52, v16, v20
	v_dual_add_f32 v54, v18, v22 :: v_dual_add_f32 v49, v25, v29
	s_wait_dscnt 0x2
	v_dual_add_f32 v55, v19, v23 :: v_dual_add_f32 v56, v8, v12
	v_dual_add_f32 v57, v9, v13 :: v_dual_add_f32 v58, v10, v14
	s_wait_dscnt 0x0
	v_dual_add_f32 v59, v11, v15 :: v_dual_add_f32 v60, v0, v4
	v_add_f32_e32 v51, v27, v31
	v_dual_add_f32 v61, v1, v5 :: v_dual_add_f32 v62, v2, v6
	v_add_f32_e32 v53, v17, v21
	;; [unrolled: 2-line block ×3, first 2 shown]
	v_dual_add_f32 v44, v56, v60 :: v_dual_add_f32 v43, v51, v55
	v_dual_add_f32 v45, v57, v61 :: v_dual_add_f32 v46, v58, v62
	v_add_f32_e32 v41, v49, v53
	v_add_f32_e32 v47, v59, v63
	s_and_saveexec_b32 s10, s4
	s_cbranch_execz .LBB10_18
; %bb.17:
	s_delay_alu instid0(VALU_DEP_1) | instskip(SKIP_2) | instid1(VALU_DEP_2)
	v_dual_add_f32 v64, v43, v47 :: v_dual_add_f32 v65, v42, v46
	v_dual_add_f32 v68, v41, v45 :: v_dual_add_f32 v69, v32, v44
	s_wait_kmcnt 0x0
	v_dual_mul_f32 v67, s9, v64 :: v_dual_mul_f32 v66, s9, v65
	s_delay_alu instid0(VALU_DEP_2)
	v_dual_mul_f32 v65, s9, v68 :: v_dual_mul_f32 v64, s9, v69
	global_store_b128 v36, v[64:67], s[0:1]
.LBB10_18:
	s_wait_alu 0xfffe
	s_or_b32 exec_lo, exec_lo, s10
	v_dual_sub_f32 v24, v24, v28 :: v_dual_sub_f32 v25, v25, v29
	v_dual_sub_f32 v26, v26, v30 :: v_dual_sub_f32 v27, v27, v31
	;; [unrolled: 1-line block ×8, first 2 shown]
	v_dual_add_f32 v0, v24, v16 :: v_dual_add_f32 v1, v25, v17
	v_dual_add_f32 v2, v26, v18 :: v_dual_add_f32 v3, v27, v19
	s_delay_alu instid0(VALU_DEP_4) | instskip(NEXT) | instid1(VALU_DEP_4)
	v_dual_add_f32 v4, v20, v28 :: v_dual_add_f32 v5, v21, v29
	v_dual_add_f32 v6, v22, v30 :: v_dual_add_f32 v7, v23, v31
	s_and_saveexec_b32 s4, vcc_lo
	s_cbranch_execz .LBB10_20
; %bb.19:
	s_delay_alu instid0(VALU_DEP_2) | instskip(NEXT) | instid1(VALU_DEP_2)
	v_dual_add_f32 v8, v0, v4 :: v_dual_add_f32 v9, v1, v5
	v_dual_add_f32 v10, v2, v6 :: v_dual_add_f32 v11, v3, v7
	s_wait_kmcnt 0x0
	s_delay_alu instid0(VALU_DEP_2) | instskip(NEXT) | instid1(VALU_DEP_2)
	v_dual_mul_f32 v8, s9, v8 :: v_dual_mul_f32 v9, s9, v9
	v_dual_mul_f32 v10, s9, v10 :: v_dual_mul_f32 v11, s9, v11
	global_store_b128 v33, v[8:11], s[0:1]
.LBB10_20:
	s_or_b32 exec_lo, exec_lo, s4
	v_dual_sub_f32 v8, v48, v52 :: v_dual_sub_f32 v9, v49, v53
	v_dual_sub_f32 v10, v50, v54 :: v_dual_sub_f32 v11, v51, v55
	;; [unrolled: 1-line block ×4, first 2 shown]
	s_and_saveexec_b32 s4, s2
	s_cbranch_execz .LBB10_22
; %bb.21:
	s_delay_alu instid0(VALU_DEP_2) | instskip(NEXT) | instid1(VALU_DEP_2)
	v_dual_add_f32 v33, v8, v12 :: v_dual_add_f32 v36, v9, v13
	v_dual_add_f32 v50, v10, v14 :: v_dual_add_f32 v51, v11, v15
	s_wait_kmcnt 0x0
	s_delay_alu instid0(VALU_DEP_2) | instskip(NEXT) | instid1(VALU_DEP_2)
	v_dual_mul_f32 v48, s9, v33 :: v_dual_mul_f32 v49, s9, v36
	v_dual_mul_f32 v50, s9, v50 :: v_dual_mul_f32 v51, s9, v51
	global_store_b128 v34, v[48:51], s[0:1]
.LBB10_22:
	s_or_b32 exec_lo, exec_lo, s4
	v_dual_sub_f32 v16, v24, v16 :: v_dual_sub_f32 v17, v25, v17
	v_dual_sub_f32 v18, v26, v18 :: v_dual_sub_f32 v19, v27, v19
	;; [unrolled: 1-line block ×4, first 2 shown]
	s_and_saveexec_b32 s2, s3
	s_cbranch_execnz .LBB10_28
; %bb.23:
	s_or_b32 exec_lo, exec_lo, s2
	s_and_saveexec_b32 s2, s5
	s_cbranch_execnz .LBB10_29
.LBB10_24:
	s_or_b32 exec_lo, exec_lo, s2
	s_and_saveexec_b32 s2, s6
	s_cbranch_execnz .LBB10_30
.LBB10_25:
	s_or_b32 exec_lo, exec_lo, s2
	s_and_saveexec_b32 s2, s7
	s_cbranch_execnz .LBB10_31
.LBB10_26:
	s_or_b32 exec_lo, exec_lo, s2
	s_and_saveexec_b32 s2, s8
	s_cbranch_execnz .LBB10_32
.LBB10_27:
	s_endpgm
.LBB10_28:
	s_delay_alu instid0(VALU_DEP_2) | instskip(NEXT) | instid1(VALU_DEP_2)
	v_dual_add_f32 v24, v16, v20 :: v_dual_add_f32 v25, v17, v21
	v_dual_add_f32 v26, v18, v22 :: v_dual_add_f32 v27, v19, v23
	s_wait_kmcnt 0x0
	s_delay_alu instid0(VALU_DEP_2) | instskip(NEXT) | instid1(VALU_DEP_2)
	v_dual_mul_f32 v24, s9, v24 :: v_dual_mul_f32 v25, s9, v25
	v_dual_mul_f32 v26, s9, v26 :: v_dual_mul_f32 v27, s9, v27
	global_store_b128 v35, v[24:27], s[0:1]
	s_or_b32 exec_lo, exec_lo, s2
	s_and_saveexec_b32 s2, s5
	s_cbranch_execz .LBB10_24
.LBB10_29:
	v_dual_sub_f32 v24, v32, v44 :: v_dual_sub_f32 v25, v41, v45
	v_dual_sub_f32 v26, v42, v46 :: v_dual_sub_f32 v27, v43, v47
	s_wait_kmcnt 0x0
	s_delay_alu instid0(VALU_DEP_2) | instskip(NEXT) | instid1(VALU_DEP_2)
	v_dual_mul_f32 v24, s9, v24 :: v_dual_mul_f32 v25, s9, v25
	v_dual_mul_f32 v26, s9, v26 :: v_dual_mul_f32 v27, s9, v27
	global_store_b128 v37, v[24:27], s[0:1]
	s_or_b32 exec_lo, exec_lo, s2
	s_and_saveexec_b32 s2, s6
	s_cbranch_execz .LBB10_25
.LBB10_30:
	v_dual_sub_f32 v0, v0, v4 :: v_dual_sub_f32 v1, v1, v5
	v_dual_sub_f32 v2, v2, v6 :: v_dual_sub_f32 v3, v3, v7
	s_wait_kmcnt 0x0
	s_delay_alu instid0(VALU_DEP_2) | instskip(NEXT) | instid1(VALU_DEP_2)
	v_dual_mul_f32 v0, s9, v0 :: v_dual_mul_f32 v1, s9, v1
	v_dual_mul_f32 v2, s9, v2 :: v_dual_mul_f32 v3, s9, v3
	global_store_b128 v38, v[0:3], s[0:1]
	s_or_b32 exec_lo, exec_lo, s2
	s_and_saveexec_b32 s2, s7
	s_cbranch_execz .LBB10_26
.LBB10_31:
	v_dual_sub_f32 v0, v8, v12 :: v_dual_sub_f32 v1, v9, v13
	v_dual_sub_f32 v2, v10, v14 :: v_dual_sub_f32 v3, v11, v15
	s_wait_kmcnt 0x0
	s_delay_alu instid0(VALU_DEP_2) | instskip(NEXT) | instid1(VALU_DEP_2)
	v_dual_mul_f32 v0, s9, v0 :: v_dual_mul_f32 v1, s9, v1
	v_dual_mul_f32 v2, s9, v2 :: v_dual_mul_f32 v3, s9, v3
	global_store_b128 v39, v[0:3], s[0:1]
	s_or_b32 exec_lo, exec_lo, s2
	s_and_saveexec_b32 s2, s8
	s_cbranch_execz .LBB10_27
.LBB10_32:
	v_dual_sub_f32 v0, v16, v20 :: v_dual_sub_f32 v1, v17, v21
	v_dual_sub_f32 v2, v18, v22 :: v_dual_sub_f32 v3, v19, v23
	s_wait_kmcnt 0x0
	s_delay_alu instid0(VALU_DEP_2) | instskip(NEXT) | instid1(VALU_DEP_2)
	v_dual_mul_f32 v0, s9, v0 :: v_dual_mul_f32 v1, s9, v1
	v_dual_mul_f32 v2, s9, v2 :: v_dual_mul_f32 v3, s9, v3
	global_store_b128 v40, v[0:3], s[0:1]
	s_endpgm
	.section	.rodata,"a",@progbits
	.p2align	6, 0x0
	.amdhsa_kernel _Z30fast_hadamard_transform_kernelI37fast_hadamard_transform_kernel_traitsILi256ELi13EfEEv18HadamardParamsBase
		.amdhsa_group_segment_fixed_size 0
		.amdhsa_private_segment_fixed_size 0
		.amdhsa_kernarg_size 312
		.amdhsa_user_sgpr_count 2
		.amdhsa_user_sgpr_dispatch_ptr 0
		.amdhsa_user_sgpr_queue_ptr 0
		.amdhsa_user_sgpr_kernarg_segment_ptr 1
		.amdhsa_user_sgpr_dispatch_id 0
		.amdhsa_user_sgpr_private_segment_size 0
		.amdhsa_wavefront_size32 1
		.amdhsa_uses_dynamic_stack 0
		.amdhsa_enable_private_segment 0
		.amdhsa_system_sgpr_workgroup_id_x 1
		.amdhsa_system_sgpr_workgroup_id_y 0
		.amdhsa_system_sgpr_workgroup_id_z 0
		.amdhsa_system_sgpr_workgroup_info 0
		.amdhsa_system_vgpr_workitem_id 0
		.amdhsa_next_free_vgpr 70
		.amdhsa_next_free_sgpr 22
		.amdhsa_reserve_vcc 1
		.amdhsa_float_round_mode_32 0
		.amdhsa_float_round_mode_16_64 0
		.amdhsa_float_denorm_mode_32 3
		.amdhsa_float_denorm_mode_16_64 3
		.amdhsa_fp16_overflow 0
		.amdhsa_workgroup_processor_mode 1
		.amdhsa_memory_ordered 1
		.amdhsa_forward_progress 1
		.amdhsa_inst_pref_size 63
		.amdhsa_round_robin_scheduling 0
		.amdhsa_exception_fp_ieee_invalid_op 0
		.amdhsa_exception_fp_denorm_src 0
		.amdhsa_exception_fp_ieee_div_zero 0
		.amdhsa_exception_fp_ieee_overflow 0
		.amdhsa_exception_fp_ieee_underflow 0
		.amdhsa_exception_fp_ieee_inexact 0
		.amdhsa_exception_int_div_zero 0
	.end_amdhsa_kernel
	.section	.text._Z30fast_hadamard_transform_kernelI37fast_hadamard_transform_kernel_traitsILi256ELi13EfEEv18HadamardParamsBase,"axG",@progbits,_Z30fast_hadamard_transform_kernelI37fast_hadamard_transform_kernel_traitsILi256ELi13EfEEv18HadamardParamsBase,comdat
.Lfunc_end10:
	.size	_Z30fast_hadamard_transform_kernelI37fast_hadamard_transform_kernel_traitsILi256ELi13EfEEv18HadamardParamsBase, .Lfunc_end10-_Z30fast_hadamard_transform_kernelI37fast_hadamard_transform_kernel_traitsILi256ELi13EfEEv18HadamardParamsBase
                                        ; -- End function
	.set _Z30fast_hadamard_transform_kernelI37fast_hadamard_transform_kernel_traitsILi256ELi13EfEEv18HadamardParamsBase.num_vgpr, 70
	.set _Z30fast_hadamard_transform_kernelI37fast_hadamard_transform_kernel_traitsILi256ELi13EfEEv18HadamardParamsBase.num_agpr, 0
	.set _Z30fast_hadamard_transform_kernelI37fast_hadamard_transform_kernel_traitsILi256ELi13EfEEv18HadamardParamsBase.numbered_sgpr, 22
	.set _Z30fast_hadamard_transform_kernelI37fast_hadamard_transform_kernel_traitsILi256ELi13EfEEv18HadamardParamsBase.num_named_barrier, 0
	.set _Z30fast_hadamard_transform_kernelI37fast_hadamard_transform_kernel_traitsILi256ELi13EfEEv18HadamardParamsBase.private_seg_size, 0
	.set _Z30fast_hadamard_transform_kernelI37fast_hadamard_transform_kernel_traitsILi256ELi13EfEEv18HadamardParamsBase.uses_vcc, 1
	.set _Z30fast_hadamard_transform_kernelI37fast_hadamard_transform_kernel_traitsILi256ELi13EfEEv18HadamardParamsBase.uses_flat_scratch, 0
	.set _Z30fast_hadamard_transform_kernelI37fast_hadamard_transform_kernel_traitsILi256ELi13EfEEv18HadamardParamsBase.has_dyn_sized_stack, 0
	.set _Z30fast_hadamard_transform_kernelI37fast_hadamard_transform_kernel_traitsILi256ELi13EfEEv18HadamardParamsBase.has_recursion, 0
	.set _Z30fast_hadamard_transform_kernelI37fast_hadamard_transform_kernel_traitsILi256ELi13EfEEv18HadamardParamsBase.has_indirect_call, 0
	.section	.AMDGPU.csdata,"",@progbits
; Kernel info:
; codeLenInByte = 8060
; TotalNumSgprs: 24
; NumVgprs: 70
; ScratchSize: 0
; MemoryBound: 0
; FloatMode: 240
; IeeeMode: 1
; LDSByteSize: 0 bytes/workgroup (compile time only)
; SGPRBlocks: 0
; VGPRBlocks: 8
; NumSGPRsForWavesPerEU: 24
; NumVGPRsForWavesPerEU: 70
; Occupancy: 16
; WaveLimiterHint : 0
; COMPUTE_PGM_RSRC2:SCRATCH_EN: 0
; COMPUTE_PGM_RSRC2:USER_SGPR: 2
; COMPUTE_PGM_RSRC2:TRAP_HANDLER: 0
; COMPUTE_PGM_RSRC2:TGID_X_EN: 1
; COMPUTE_PGM_RSRC2:TGID_Y_EN: 0
; COMPUTE_PGM_RSRC2:TGID_Z_EN: 0
; COMPUTE_PGM_RSRC2:TIDIG_COMP_CNT: 0
	.section	.text._Z30fast_hadamard_transform_kernelI37fast_hadamard_transform_kernel_traitsILi256ELi14EfEEv18HadamardParamsBase,"axG",@progbits,_Z30fast_hadamard_transform_kernelI37fast_hadamard_transform_kernel_traitsILi256ELi14EfEEv18HadamardParamsBase,comdat
	.protected	_Z30fast_hadamard_transform_kernelI37fast_hadamard_transform_kernel_traitsILi256ELi14EfEEv18HadamardParamsBase ; -- Begin function _Z30fast_hadamard_transform_kernelI37fast_hadamard_transform_kernel_traitsILi256ELi14EfEEv18HadamardParamsBase
	.globl	_Z30fast_hadamard_transform_kernelI37fast_hadamard_transform_kernel_traitsILi256ELi14EfEEv18HadamardParamsBase
	.p2align	8
	.type	_Z30fast_hadamard_transform_kernelI37fast_hadamard_transform_kernel_traitsILi256ELi14EfEEv18HadamardParamsBase,@function
_Z30fast_hadamard_transform_kernelI37fast_hadamard_transform_kernel_traitsILi256ELi14EfEEv18HadamardParamsBase: ; @_Z30fast_hadamard_transform_kernelI37fast_hadamard_transform_kernel_traitsILi256ELi14EfEEv18HadamardParamsBase
; %bb.0:
	s_clause 0x3
	s_load_b128 s[24:27], s[0:1], 0x10
	s_load_b32 s17, s[0:1], 0x4
	s_load_b128 s[20:23], s[0:1], 0x28
	s_load_b32 s2, s[0:1], 0x44
	v_dual_mov_b32 v1, 0 :: v_dual_lshlrev_b32 v2, 2, v0
	s_mov_b32 s28, ttmp9
	s_ashr_i32 s29, ttmp9, 31
	v_dual_mov_b32 v5, 0 :: v_dual_mov_b32 v6, 0
	v_dual_mov_b32 v7, 0 :: v_dual_lshlrev_b32 v82, 4, v0
	v_mov_b32_e32 v8, 0
	s_wait_kmcnt 0x0
	s_mul_u64 s[4:5], s[24:25], s[28:29]
	v_cmp_gt_u32_e64 s12, s17, v2
	s_lshl_b64 s[4:5], s[4:5], 2
	s_delay_alu instid0(SALU_CYCLE_1)
	s_add_nc_u64 s[18:19], s[20:21], s[4:5]
	s_and_saveexec_b32 s3, s12
	s_cbranch_execz .LBB11_2
; %bb.1:
	global_load_b128 v[5:8], v82, s[18:19]
.LBB11_2:
	s_or_b32 exec_lo, exec_lo, s3
	s_and_b32 s20, 0xffff, s2
	s_delay_alu instid0(SALU_CYCLE_1) | instskip(NEXT) | instid1(VALU_DEP_1)
	v_dual_mov_b32 v2, 0 :: v_dual_add_nc_u32 v9, s20, v0
	v_dual_mov_b32 v3, 0 :: v_dual_lshlrev_b32 v4, 2, v9
	v_lshlrev_b32_e32 v78, 4, v9
	s_delay_alu instid0(VALU_DEP_2)
	v_cmp_gt_u32_e64 s8, s17, v4
	v_mov_b32_e32 v4, 0
	s_and_saveexec_b32 s2, s8
	s_cbranch_execz .LBB11_4
; %bb.3:
	global_load_b128 v[1:4], v78, s[18:19]
.LBB11_4:
	s_or_b32 exec_lo, exec_lo, s2
	v_dual_mov_b32 v9, 0 :: v_dual_add_nc_u32 v10, s20, v9
	v_mov_b32_e32 v13, 0
	v_dual_mov_b32 v15, 0 :: v_dual_mov_b32 v16, 0
	s_delay_alu instid0(VALU_DEP_3) | instskip(SKIP_1) | instid1(VALU_DEP_2)
	v_dual_mov_b32 v14, 0 :: v_dual_lshlrev_b32 v11, 2, v10
	v_lshlrev_b32_e32 v76, 4, v10
	v_cmp_gt_u32_e64 s6, s17, v11
	s_and_saveexec_b32 s2, s6
	s_cbranch_execz .LBB11_6
; %bb.5:
	global_load_b128 v[13:16], v76, s[18:19]
.LBB11_6:
	s_or_b32 exec_lo, exec_lo, s2
	v_dual_mov_b32 v10, 0 :: v_dual_add_nc_u32 v17, s20, v10
	s_delay_alu instid0(VALU_DEP_1) | instskip(SKIP_1) | instid1(VALU_DEP_2)
	v_dual_mov_b32 v11, 0 :: v_dual_lshlrev_b32 v12, 2, v17
	v_lshlrev_b32_e32 v71, 4, v17
	v_cmp_gt_u32_e32 vcc_lo, s17, v12
	v_mov_b32_e32 v12, 0
	s_and_saveexec_b32 s2, vcc_lo
	s_cbranch_execz .LBB11_8
; %bb.7:
	global_load_b128 v[9:12], v71, s[18:19]
.LBB11_8:
	s_or_b32 exec_lo, exec_lo, s2
	v_dual_mov_b32 v17, 0 :: v_dual_add_nc_u32 v18, s20, v17
	v_mov_b32_e32 v21, 0
	v_dual_mov_b32 v23, 0 :: v_dual_mov_b32 v24, 0
	s_delay_alu instid0(VALU_DEP_3) | instskip(SKIP_1) | instid1(VALU_DEP_2)
	v_dual_mov_b32 v22, 0 :: v_dual_lshlrev_b32 v19, 2, v18
	v_lshlrev_b32_e32 v72, 4, v18
	v_cmp_gt_u32_e64 s2, s17, v19
	s_and_saveexec_b32 s3, s2
	s_cbranch_execz .LBB11_10
; %bb.9:
	global_load_b128 v[21:24], v72, s[18:19]
.LBB11_10:
	s_or_b32 exec_lo, exec_lo, s3
	v_dual_mov_b32 v18, 0 :: v_dual_add_nc_u32 v25, s20, v18
	s_delay_alu instid0(VALU_DEP_1) | instskip(SKIP_1) | instid1(VALU_DEP_2)
	v_dual_mov_b32 v19, 0 :: v_dual_lshlrev_b32 v20, 2, v25
	v_lshlrev_b32_e32 v73, 4, v25
	v_cmp_gt_u32_e64 s3, s17, v20
	v_mov_b32_e32 v20, 0
	s_and_saveexec_b32 s4, s3
	s_cbranch_execz .LBB11_12
; %bb.11:
	global_load_b128 v[17:20], v73, s[18:19]
.LBB11_12:
	s_or_b32 exec_lo, exec_lo, s4
	v_dual_mov_b32 v25, 0 :: v_dual_add_nc_u32 v26, s20, v25
	v_mov_b32_e32 v29, 0
	v_dual_mov_b32 v31, 0 :: v_dual_mov_b32 v32, 0
	s_delay_alu instid0(VALU_DEP_3) | instskip(SKIP_1) | instid1(VALU_DEP_2)
	v_dual_mov_b32 v30, 0 :: v_dual_lshlrev_b32 v27, 2, v26
	v_lshlrev_b32_e32 v74, 4, v26
	v_cmp_gt_u32_e64 s4, s17, v27
	s_and_saveexec_b32 s5, s4
	s_cbranch_execz .LBB11_14
; %bb.13:
	global_load_b128 v[29:32], v74, s[18:19]
.LBB11_14:
	s_or_b32 exec_lo, exec_lo, s5
	v_dual_mov_b32 v26, 0 :: v_dual_add_nc_u32 v33, s20, v26
	s_delay_alu instid0(VALU_DEP_1) | instskip(SKIP_1) | instid1(VALU_DEP_2)
	v_dual_mov_b32 v27, 0 :: v_dual_lshlrev_b32 v28, 2, v33
	v_lshlrev_b32_e32 v75, 4, v33
	v_cmp_gt_u32_e64 s5, s17, v28
	v_mov_b32_e32 v28, 0
	s_and_saveexec_b32 s7, s5
	s_cbranch_execz .LBB11_16
; %bb.15:
	global_load_b128 v[25:28], v75, s[18:19]
.LBB11_16:
	s_or_b32 exec_lo, exec_lo, s7
	v_dual_mov_b32 v33, 0 :: v_dual_add_nc_u32 v34, s20, v33
	v_dual_mov_b32 v37, 0 :: v_dual_mov_b32 v40, 0
	v_mov_b32_e32 v39, 0
	s_delay_alu instid0(VALU_DEP_3) | instskip(SKIP_1) | instid1(VALU_DEP_2)
	v_dual_mov_b32 v38, 0 :: v_dual_lshlrev_b32 v35, 2, v34
	v_lshlrev_b32_e32 v77, 4, v34
	v_cmp_gt_u32_e64 s7, s17, v35
	s_and_saveexec_b32 s9, s7
	s_cbranch_execz .LBB11_18
; %bb.17:
	global_load_b128 v[37:40], v77, s[18:19]
.LBB11_18:
	s_or_b32 exec_lo, exec_lo, s9
	v_dual_mov_b32 v34, 0 :: v_dual_add_nc_u32 v41, s20, v34
	s_delay_alu instid0(VALU_DEP_1) | instskip(SKIP_1) | instid1(VALU_DEP_2)
	v_dual_mov_b32 v35, 0 :: v_dual_lshlrev_b32 v36, 2, v41
	v_lshlrev_b32_e32 v79, 4, v41
	v_cmp_gt_u32_e64 s9, s17, v36
	v_mov_b32_e32 v36, 0
	s_and_saveexec_b32 s10, s9
	s_cbranch_execz .LBB11_20
; %bb.19:
	global_load_b128 v[33:36], v79, s[18:19]
.LBB11_20:
	s_or_b32 exec_lo, exec_lo, s10
	v_dual_mov_b32 v41, 0 :: v_dual_add_nc_u32 v42, s20, v41
	v_mov_b32_e32 v45, 0
	v_dual_mov_b32 v47, 0 :: v_dual_mov_b32 v48, 0
	s_delay_alu instid0(VALU_DEP_3) | instskip(SKIP_1) | instid1(VALU_DEP_2)
	v_dual_mov_b32 v46, 0 :: v_dual_lshlrev_b32 v43, 2, v42
	v_lshlrev_b32_e32 v80, 4, v42
	v_cmp_gt_u32_e64 s10, s17, v43
	s_and_saveexec_b32 s11, s10
	s_cbranch_execz .LBB11_22
; %bb.21:
	global_load_b128 v[45:48], v80, s[18:19]
.LBB11_22:
	s_or_b32 exec_lo, exec_lo, s11
	v_dual_mov_b32 v42, 0 :: v_dual_add_nc_u32 v49, s20, v42
	s_delay_alu instid0(VALU_DEP_1) | instskip(SKIP_1) | instid1(VALU_DEP_2)
	v_dual_mov_b32 v43, 0 :: v_dual_lshlrev_b32 v44, 2, v49
	v_lshlrev_b32_e32 v81, 4, v49
	v_cmp_gt_u32_e64 s11, s17, v44
	v_mov_b32_e32 v44, 0
	s_and_saveexec_b32 s13, s11
	s_cbranch_execz .LBB11_24
; %bb.23:
	global_load_b128 v[41:44], v81, s[18:19]
.LBB11_24:
	s_or_b32 exec_lo, exec_lo, s13
	v_dual_mov_b32 v53, 0 :: v_dual_add_nc_u32 v54, s20, v49
	v_dual_mov_b32 v50, 0 :: v_dual_mov_b32 v51, 0
	s_delay_alu instid0(VALU_DEP_2) | instskip(SKIP_1) | instid1(VALU_DEP_2)
	v_dual_mov_b32 v49, 0 :: v_dual_lshlrev_b32 v52, 2, v54
	v_lshlrev_b32_e32 v83, 4, v54
	v_cmp_gt_u32_e64 s13, s17, v52
	v_mov_b32_e32 v52, 0
	s_and_saveexec_b32 s14, s13
	s_cbranch_execz .LBB11_26
; %bb.25:
	global_load_b128 v[49:52], v83, s[18:19]
.LBB11_26:
	s_or_b32 exec_lo, exec_lo, s14
	v_dual_mov_b32 v54, 0 :: v_dual_add_nc_u32 v67, s20, v54
	s_delay_alu instid0(VALU_DEP_1) | instskip(NEXT) | instid1(VALU_DEP_1)
	v_dual_mov_b32 v55, 0 :: v_dual_lshlrev_b32 v56, 2, v67
	v_cmp_gt_u32_e64 s14, s17, v56
	v_mov_b32_e32 v56, 0
	s_and_saveexec_b32 s16, s14
	s_cbranch_execz .LBB11_28
; %bb.27:
	v_mov_b32_e32 v68, 0
	s_delay_alu instid0(VALU_DEP_1) | instskip(NEXT) | instid1(VALU_DEP_1)
	v_lshlrev_b64_e32 v[53:54], 4, v[67:68]
	v_add_co_u32 v53, s15, s18, v53
	s_delay_alu instid0(VALU_DEP_1)
	v_add_co_ci_u32_e64 v54, null, s19, v54, s15
	global_load_b128 v[53:56], v[53:54], off
.LBB11_28:
	s_wait_alu 0xfffe
	s_or_b32 exec_lo, exec_lo, s16
	v_dual_mov_b32 v62, 0 :: v_dual_add_nc_u32 v65, s20, v67
	v_dual_mov_b32 v61, 0 :: v_dual_mov_b32 v64, 0
	s_delay_alu instid0(VALU_DEP_2) | instskip(SKIP_1) | instid1(VALU_DEP_2)
	v_dual_mov_b32 v63, 0 :: v_dual_lshlrev_b32 v58, 2, v65
	v_mov_b32_e32 v57, 0
	v_cmp_gt_u32_e64 s15, s17, v58
	s_and_saveexec_b32 s21, s15
	s_cbranch_execz .LBB11_30
; %bb.29:
	v_mov_b32_e32 v66, 0
	s_delay_alu instid0(VALU_DEP_1) | instskip(NEXT) | instid1(VALU_DEP_1)
	v_lshlrev_b64_e32 v[58:59], 4, v[65:66]
	v_add_co_u32 v58, s16, s18, v58
	s_wait_alu 0xf1ff
	s_delay_alu instid0(VALU_DEP_2)
	v_add_co_ci_u32_e64 v59, null, s19, v59, s16
	global_load_b128 v[61:64], v[58:59], off
.LBB11_30:
	s_wait_alu 0xfffe
	s_or_b32 exec_lo, exec_lo, s21
	v_dual_mov_b32 v58, 0 :: v_dual_add_nc_u32 v69, s20, v65
	s_delay_alu instid0(VALU_DEP_1) | instskip(NEXT) | instid1(VALU_DEP_1)
	v_dual_mov_b32 v59, 0 :: v_dual_lshlrev_b32 v60, 2, v69
	v_cmp_gt_u32_e64 s16, s17, v60
	v_mov_b32_e32 v60, 0
	s_and_saveexec_b32 s20, s16
	s_cbranch_execz .LBB11_32
; %bb.31:
	v_mov_b32_e32 v70, 0
	s_delay_alu instid0(VALU_DEP_1) | instskip(NEXT) | instid1(VALU_DEP_1)
	v_lshlrev_b64_e32 v[57:58], 4, v[69:70]
	v_add_co_u32 v57, s17, s18, v57
	s_wait_alu 0xf1ff
	s_delay_alu instid0(VALU_DEP_2)
	v_add_co_ci_u32_e64 v58, null, s19, v58, s17
	global_load_b128 v[57:60], v[57:58], off
.LBB11_32:
	s_wait_alu 0xfffe
	s_or_b32 exec_lo, exec_lo, s20
	s_wait_loadcnt 0x0
	v_add_f32_e32 v66, v5, v6
	v_sub_f32_e32 v5, v5, v6
	v_add_f32_e32 v6, v1, v2
	v_sub_f32_e32 v1, v1, v2
	;; [unrolled: 2-line block ×12, first 2 shown]
	v_add_f32_e32 v42, v49, v50
	v_dual_sub_f32 v49, v49, v50 :: v_dual_add_f32 v50, v7, v8
	v_dual_sub_f32 v7, v7, v8 :: v_dual_add_f32 v8, v53, v54
	v_dual_sub_f32 v53, v53, v54 :: v_dual_add_f32 v54, v3, v4
	v_dual_sub_f32 v3, v3, v4 :: v_dual_add_f32 v4, v61, v62
	v_dual_sub_f32 v61, v61, v62 :: v_dual_add_f32 v62, v15, v16
	v_dual_sub_f32 v15, v15, v16 :: v_dual_add_f32 v16, v57, v58
	v_dual_sub_f32 v57, v57, v58 :: v_dual_add_f32 v58, v11, v12
	v_sub_f32_e32 v11, v11, v12
	v_add_f32_e32 v12, v23, v24
	v_sub_f32_e32 v23, v23, v24
	v_add_f32_e32 v24, v19, v20
	;; [unrolled: 2-line block ×12, first 2 shown]
	v_dual_sub_f32 v59, v59, v60 :: v_dual_add_f32 v60, v66, v50
	v_sub_f32_e32 v50, v66, v50
	v_add_f32_e32 v66, v6, v54
	v_sub_f32_e32 v6, v6, v54
	v_add_f32_e32 v54, v2, v62
	;; [unrolled: 2-line block ×14, first 2 shown]
	v_sub_f32_e32 v56, v4, v56
	v_mbcnt_lo_u32_b32 v4, -1, 0
	v_add_f32_e32 v68, v16, v64
	v_sub_f32_e32 v16, v16, v64
	v_add_f32_e32 v64, v5, v7
	v_sub_f32_e32 v5, v5, v7
	;; [unrolled: 2-line block ×3, first 2 shown]
	v_xor_b32_e32 v1, 1, v4
	s_load_b32 s20, s[0:1], 0x20
	s_barrier_signal -1
	s_barrier_wait -1
	s_delay_alu instid0(VALU_DEP_1) | instskip(SKIP_2) | instid1(VALU_DEP_1)
	v_cmp_gt_i32_e64 s0, 32, v1
	global_inv scope:SCOPE_SE
	v_cndmask_b32_e64 v1, v4, v1, s0
	v_lshlrev_b32_e32 v1, 2, v1
	ds_bpermute_b32 v84, v1, v60
	v_add_f32_e32 v70, v13, v15
	v_sub_f32_e32 v13, v13, v15
	v_add_f32_e32 v15, v9, v11
	v_sub_f32_e32 v9, v9, v11
	;; [unrolled: 2-line block ×9, first 2 shown]
	v_and_b32_e32 v47, 1, v0
	ds_bpermute_b32 v85, v1, v64
	v_add_f32_e32 v86, v41, v43
	v_sub_f32_e32 v41, v41, v43
	v_add_f32_e32 v43, v49, v51
	v_cmp_eq_u32_e64 s0, 0, v47
	v_sub_f32_e32 v47, v49, v51
	v_add_f32_e32 v49, v53, v55
	v_sub_f32_e32 v51, v53, v55
	ds_bpermute_b32 v87, v1, v5
	s_wait_alu 0xf1ff
	v_cndmask_b32_e64 v55, -v60, v60, s0
	v_cndmask_b32_e64 v60, -v64, v64, s0
	ds_bpermute_b32 v64, v1, v50
	v_add_f32_e32 v53, v61, v63
	ds_bpermute_b32 v88, v1, v66
	ds_bpermute_b32 v89, v1, v7
	;; [unrolled: 1-line block ×3, first 2 shown]
	v_sub_f32_e32 v61, v61, v63
	v_add_f32_e32 v63, v57, v59
	v_sub_f32_e32 v57, v57, v59
	s_wait_dscnt 0x6
	v_add_f32_e32 v55, v55, v84
	s_wait_dscnt 0x5
	v_add_f32_e32 v59, v60, v85
	v_cndmask_b32_e64 v50, -v50, v50, s0
	v_cndmask_b32_e64 v5, -v5, v5, s0
	;; [unrolled: 1-line block ×3, first 2 shown]
	ds_bpermute_b32 v66, v1, v3
	ds_bpermute_b32 v85, v1, v70
	;; [unrolled: 1-line block ×5, first 2 shown]
	s_wait_dscnt 0x9
	v_add_f32_e32 v5, v5, v87
	v_cndmask_b32_e64 v3, -v3, v3, s0
	s_wait_dscnt 0x8
	v_add_f32_e32 v50, v50, v64
	v_cndmask_b32_e64 v64, -v70, v70, s0
	ds_bpermute_b32 v70, v1, v62
	ds_bpermute_b32 v87, v1, v15
	v_cndmask_b32_e64 v7, -v7, v7, s0
	v_cndmask_b32_e64 v6, -v6, v6, s0
	;; [unrolled: 1-line block ×5, first 2 shown]
	s_wait_dscnt 0x7
	v_dual_add_f32 v7, v7, v89 :: v_dual_add_f32 v6, v6, v90
	ds_bpermute_b32 v89, v1, v9
	v_cndmask_b32_e64 v15, -v15, v15, s0
	v_add_f32_e32 v60, v60, v88
	ds_bpermute_b32 v88, v1, v14
	s_wait_dscnt 0x8
	v_add_f32_e32 v3, v3, v66
	s_wait_dscnt 0x5
	v_add_f32_e32 v13, v13, v92
	ds_bpermute_b32 v92, v1, v23
	v_add_f32_e32 v64, v64, v85
	ds_bpermute_b32 v85, v1, v21
	v_add_f32_e32 v66, v2, v91
	v_cndmask_b32_e64 v2, -v62, v62, s0
	ds_bpermute_b32 v62, v1, v11
	v_cndmask_b32_e64 v9, -v9, v9, s0
	s_wait_dscnt 0x7
	v_add_f32_e32 v54, v54, v84
	ds_bpermute_b32 v84, v1, v10
	s_wait_dscnt 0x6
	v_add_f32_e32 v15, v15, v87
	ds_bpermute_b32 v87, v1, v17
	v_cndmask_b32_e64 v17, -v17, v17, s0
	v_add_f32_e32 v70, v2, v70
	v_cndmask_b32_e64 v2, -v11, v11, s0
	v_cndmask_b32_e64 v11, -v21, v21, s0
	;; [unrolled: 1-line block ×3, first 2 shown]
	ds_bpermute_b32 v23, v1, v22
	v_cndmask_b32_e64 v14, -v14, v14, s0
	s_wait_dscnt 0x7
	v_add_f32_e32 v9, v9, v89
	v_cndmask_b32_e64 v10, -v10, v10, s0
	ds_bpermute_b32 v89, v1, v19
	s_wait_dscnt 0x6
	v_add_f32_e32 v21, v21, v92
	v_cndmask_b32_e64 v19, -v19, v19, s0
	v_add_f32_e32 v14, v14, v88
	ds_bpermute_b32 v88, v1, v24
	ds_bpermute_b32 v92, v1, v25
	v_cndmask_b32_e64 v25, -v25, v25, s0
	s_wait_dscnt 0x6
	v_add_f32_e32 v62, v2, v62
	v_cndmask_b32_e64 v2, -v22, v22, s0
	v_cndmask_b32_e64 v22, -v24, v24, s0
	ds_bpermute_b32 v24, v1, v29
	ds_bpermute_b32 v91, v1, v12
	v_add_f32_e32 v11, v11, v85
	ds_bpermute_b32 v85, v1, v31
	s_wait_dscnt 0x7
	v_add_f32_e32 v17, v17, v87
	ds_bpermute_b32 v87, v1, v27
	v_cndmask_b32_e64 v27, -v27, v27, s0
	v_add_f32_e32 v10, v10, v84
	ds_bpermute_b32 v84, v1, v20
	v_cndmask_b32_e64 v20, -v20, v20, s0
	s_wait_dscnt 0x8
	v_add_f32_e32 v23, v2, v23
	v_cndmask_b32_e64 v2, -v29, v29, s0
	v_cndmask_b32_e64 v29, -v31, v31, s0
	ds_bpermute_b32 v31, v1, v32
	ds_bpermute_b32 v90, v1, v58
	v_cndmask_b32_e64 v12, -v12, v12, s0
	v_cndmask_b32_e64 v58, -v58, v58, s0
	s_wait_dscnt 0x9
	v_add_f32_e32 v19, v19, v89
	ds_bpermute_b32 v89, v1, v37
	s_wait_dscnt 0x8
	v_add_f32_e32 v25, v25, v92
	s_wait_dscnt 0x7
	v_add_f32_e32 v24, v2, v24
	v_cndmask_b32_e64 v2, -v32, v32, s0
	v_cndmask_b32_e64 v32, -v37, v37, s0
	ds_bpermute_b32 v37, v1, v39
	s_wait_dscnt 0x6
	v_add_f32_e32 v29, v29, v85
	ds_bpermute_b32 v85, v1, v33
	ds_bpermute_b32 v92, v1, v35
	s_wait_dscnt 0x6
	v_dual_add_f32 v27, v27, v87 :: v_dual_add_f32 v20, v20, v84
	ds_bpermute_b32 v84, v1, v38
	v_cndmask_b32_e64 v38, -v38, v38, s0
	v_cndmask_b32_e64 v33, -v33, v33, s0
	;; [unrolled: 1-line block ×3, first 2 shown]
	s_wait_dscnt 0x6
	v_add_f32_e32 v31, v2, v31
	v_cndmask_b32_e64 v2, -v39, v39, s0
	v_add_f32_e32 v12, v12, v91
	ds_bpermute_b32 v91, v1, v30
	s_wait_dscnt 0x6
	v_add_f32_e32 v58, v58, v90
	ds_bpermute_b32 v90, v1, v18
	v_cndmask_b32_e64 v30, -v30, v30, s0
	v_cndmask_b32_e64 v18, -v18, v18, s0
	s_wait_dscnt 0x6
	v_add_f32_e32 v32, v32, v89
	v_cndmask_b32_e64 v39, -v40, v40, s0
	ds_bpermute_b32 v87, v1, v45
	ds_bpermute_b32 v89, v1, v86
	s_wait_dscnt 0x6
	v_dual_add_f32 v22, v22, v88 :: v_dual_add_f32 v33, v33, v85
	ds_bpermute_b32 v88, v1, v26
	v_add_f32_e32 v37, v2, v37
	v_cndmask_b32_e64 v2, -v34, v34, s0
	ds_bpermute_b32 v85, v1, v48
	v_cndmask_b32_e64 v26, -v26, v26, s0
	s_wait_dscnt 0x7
	v_add_f32_e32 v35, v35, v92
	ds_bpermute_b32 v92, v1, v47
	v_cndmask_b32_e64 v47, -v47, v47, s0
	s_wait_dscnt 0x6
	v_add_f32_e32 v30, v30, v91
	ds_bpermute_b32 v91, v1, v40
	ds_bpermute_b32 v40, v1, v34
	s_wait_dscnt 0x7
	v_add_f32_e32 v18, v18, v90
	ds_bpermute_b32 v90, v1, v28
	v_cndmask_b32_e64 v34, -v45, v45, s0
	v_cndmask_b32_e64 v45, -v86, v86, s0
	ds_bpermute_b32 v86, v1, v43
	v_cndmask_b32_e64 v43, -v43, v43, s0
	v_add_f32_e32 v38, v38, v84
	ds_bpermute_b32 v84, v1, v41
	v_cndmask_b32_e64 v28, -v28, v28, s0
	s_wait_dscnt 0x8
	v_add_f32_e32 v45, v45, v89
	ds_bpermute_b32 v89, v1, v51
	v_cndmask_b32_e64 v51, -v51, v51, s0
	v_add_f32_e32 v34, v34, v87
	ds_bpermute_b32 v87, v1, v49
	v_cndmask_b32_e64 v49, -v49, v49, s0
	s_wait_dscnt 0x7
	v_add_f32_e32 v47, v47, v92
	s_wait_dscnt 0x5
	v_dual_add_f32 v39, v39, v91 :: v_dual_add_f32 v40, v2, v40
	v_cndmask_b32_e64 v2, -v41, v41, s0
	v_cndmask_b32_e64 v41, -v48, v48, s0
	v_add_f32_e32 v26, v26, v88
	s_wait_dscnt 0x4
	v_add_f32_e32 v28, v28, v90
	ds_bpermute_b32 v88, v1, v36
	ds_bpermute_b32 v90, v1, v46
	;; [unrolled: 1-line block ×3, first 2 shown]
	s_wait_dscnt 0x5
	v_dual_add_f32 v84, v2, v84 :: v_dual_add_f32 v41, v41, v85
	v_cndmask_b32_e64 v2, -v44, v44, s0
	ds_bpermute_b32 v44, v1, v53
	ds_bpermute_b32 v85, v1, v56
	;; [unrolled: 1-line block ×3, first 2 shown]
	v_cndmask_b32_e64 v36, -v36, v36, s0
	v_cndmask_b32_e64 v46, -v46, v46, s0
	;; [unrolled: 1-line block ×4, first 2 shown]
	v_add_f32_e32 v43, v43, v86
	s_wait_dscnt 0x6
	v_add_f32_e32 v49, v49, v87
	ds_bpermute_b32 v86, v1, v61
	ds_bpermute_b32 v87, v1, v68
	v_cndmask_b32_e64 v42, -v42, v42, s0
	v_add_f32_e32 v51, v51, v89
	ds_bpermute_b32 v89, v1, v16
	v_cndmask_b32_e64 v16, -v16, v16, s0
	s_wait_dscnt 0x7
	v_add_f32_e32 v46, v46, v90
	s_wait_dscnt 0x6
	v_add_f32_e32 v48, v2, v48
	v_xor_b32_e32 v2, 2, v4
	ds_bpermute_b32 v90, v1, v52
	v_cndmask_b32_e64 v52, -v52, v52, s0
	s_wait_dscnt 0x5
	v_dual_add_f32 v44, v53, v44 :: v_dual_add_f32 v53, v56, v85
	v_cndmask_b32_e64 v56, -v61, v61, s0
	v_cndmask_b32_e64 v61, -v68, v68, s0
	v_add_f32_e32 v36, v36, v88
	ds_bpermute_b32 v88, v1, v8
	ds_bpermute_b32 v68, v1, v57
	v_cmp_gt_i32_e64 s1, 32, v2
	s_wait_dscnt 0x6
	v_dual_add_f32 v42, v42, v91 :: v_dual_and_b32 v85, 2, v0
	v_cndmask_b32_e64 v8, -v8, v8, s0
	v_cndmask_b32_e64 v57, -v57, v57, s0
	s_wait_alu 0xf1ff
	v_cndmask_b32_e64 v2, v4, v2, s1
	s_wait_dscnt 0x4
	v_add_f32_e32 v61, v61, v87
	v_cmp_eq_u32_e64 s1, 0, v85
	s_wait_dscnt 0x0
	v_dual_add_f32 v57, v57, v68 :: v_dual_lshlrev_b32 v2, 2, v2
	ds_bpermute_b32 v93, v2, v5
	s_wait_alu 0xf1ff
	v_cndmask_b32_e64 v5, -v5, v5, s1
	v_add_f32_e32 v8, v8, v88
	ds_bpermute_b32 v88, v1, v63
	v_cndmask_b32_e64 v63, -v63, v63, s0
	v_add_f32_e32 v52, v52, v90
	ds_bpermute_b32 v90, v2, v55
	ds_bpermute_b32 v91, v2, v59
	;; [unrolled: 1-line block ×3, first 2 shown]
	v_cndmask_b32_e64 v55, -v55, v55, s1
	ds_bpermute_b32 v85, v2, v60
	ds_bpermute_b32 v87, v2, v6
	;; [unrolled: 1-line block ×3, first 2 shown]
	v_cndmask_b32_e64 v59, -v59, v59, s1
	v_cndmask_b32_e64 v50, -v50, v50, s1
	;; [unrolled: 1-line block ×4, first 2 shown]
	s_wait_dscnt 0x7
	v_add_f32_e32 v5, v5, v93
	ds_bpermute_b32 v93, v2, v15
	v_cndmask_b32_e64 v15, -v15, v15, s1
	s_wait_dscnt 0x7
	v_add_f32_e32 v63, v63, v88
	ds_bpermute_b32 v88, v2, v3
	v_cndmask_b32_e64 v3, -v3, v3, s1
	v_add_f32_e32 v56, v56, v86
	ds_bpermute_b32 v86, v2, v7
	s_wait_dscnt 0x8
	v_add_f32_e32 v55, v55, v90
	ds_bpermute_b32 v90, v2, v66
	v_cndmask_b32_e64 v7, -v7, v7, s1
	s_wait_dscnt 0x7
	v_dual_add_f32 v59, v59, v91 :: v_dual_add_f32 v50, v50, v92
	ds_bpermute_b32 v91, v2, v13
	ds_bpermute_b32 v92, v2, v70
	v_cndmask_b32_e64 v13, -v13, v13, s1
	v_add_f32_e32 v16, v16, v89
	ds_bpermute_b32 v89, v2, v54
	v_cndmask_b32_e64 v54, -v54, v54, s1
	s_wait_dscnt 0x6
	v_add_f32_e32 v15, v15, v93
	ds_bpermute_b32 v93, v2, v17
	v_cndmask_b32_e64 v17, -v17, v17, s1
	s_wait_dscnt 0x5
	v_add_f32_e32 v7, v7, v86
	ds_bpermute_b32 v86, v2, v9
	v_cndmask_b32_e64 v9, -v9, v9, s1
	v_dual_add_f32 v60, v60, v85 :: v_dual_add_f32 v85, v3, v88
	v_cndmask_b32_e64 v3, -v64, v64, s1
	v_cndmask_b32_e64 v64, -v66, v66, s1
	;; [unrolled: 1-line block ×3, first 2 shown]
	ds_bpermute_b32 v70, v2, v14
	ds_bpermute_b32 v88, v2, v62
	v_add_f32_e32 v68, v3, v68
	s_wait_dscnt 0x7
	v_add_f32_e32 v64, v64, v90
	v_cndmask_b32_e64 v3, -v14, v14, s1
	v_cndmask_b32_e64 v14, -v58, v58, s1
	ds_bpermute_b32 v90, v2, v12
	v_add_f32_e32 v6, v6, v87
	ds_bpermute_b32 v87, v2, v58
	v_cndmask_b32_e64 v58, -v62, v62, s1
	ds_bpermute_b32 v62, v2, v11
	s_wait_dscnt 0x9
	v_add_f32_e32 v13, v13, v91
	ds_bpermute_b32 v91, v2, v21
	s_wait_dscnt 0x6
	v_add_f32_e32 v9, v9, v86
	ds_bpermute_b32 v86, v2, v19
	v_cndmask_b32_e64 v19, -v19, v19, s1
	v_add_f32_e32 v66, v66, v92
	ds_bpermute_b32 v92, v2, v23
	v_add_f32_e32 v17, v17, v93
	ds_bpermute_b32 v93, v2, v27
	s_wait_dscnt 0x8
	v_add_f32_e32 v70, v3, v70
	v_cndmask_b32_e64 v3, -v11, v11, s1
	v_cndmask_b32_e64 v11, -v12, v12, s1
	;; [unrolled: 1-line block ×4, first 2 shown]
	ds_bpermute_b32 v23, v2, v22
	v_add_f32_e32 v54, v54, v89
	ds_bpermute_b32 v89, v2, v10
	v_cndmask_b32_e64 v27, -v27, v27, s1
	s_wait_dscnt 0x9
	v_add_f32_e32 v58, v58, v88
	ds_bpermute_b32 v88, v2, v24
	s_wait_dscnt 0x7
	v_add_f32_e32 v62, v3, v62
	v_cndmask_b32_e64 v3, -v22, v22, s1
	v_cndmask_b32_e64 v22, -v24, v24, s1
	ds_bpermute_b32 v24, v2, v29
	v_cndmask_b32_e64 v10, -v10, v10, s1
	v_add_f32_e32 v11, v11, v90
	s_wait_dscnt 0x5
	v_add_f32_e32 v21, v21, v92
	ds_bpermute_b32 v90, v2, v30
	ds_bpermute_b32 v92, v2, v31
	v_add_f32_e32 v19, v19, v86
	ds_bpermute_b32 v86, v2, v32
	s_wait_dscnt 0x7
	v_add_f32_e32 v27, v27, v93
	ds_bpermute_b32 v93, v2, v34
	v_cndmask_b32_e64 v34, -v34, v34, s1
	s_wait_dscnt 0x7
	v_add_f32_e32 v23, v3, v23
	v_cndmask_b32_e64 v3, -v29, v29, s1
	v_cndmask_b32_e64 v29, -v30, v30, s1
	;; [unrolled: 1-line block ×3, first 2 shown]
	ds_bpermute_b32 v31, v2, v26
	v_add_f32_e32 v14, v14, v87
	s_wait_dscnt 0x6
	v_add_f32_e32 v22, v22, v88
	ds_bpermute_b32 v88, v2, v37
	ds_bpermute_b32 v87, v2, v18
	s_wait_dscnt 0x7
	v_add_f32_e32 v24, v3, v24
	v_cndmask_b32_e64 v3, -v26, v26, s1
	v_add_f32_e32 v10, v10, v89
	ds_bpermute_b32 v89, v2, v20
	v_cndmask_b32_e64 v20, -v20, v20, s1
	s_wait_dscnt 0x7
	v_add_f32_e32 v29, v29, v90
	v_cndmask_b32_e64 v26, -v32, v32, s1
	v_cndmask_b32_e64 v32, -v37, v37, s1
	;; [unrolled: 1-line block ×3, first 2 shown]
	ds_bpermute_b32 v90, v2, v39
	v_cndmask_b32_e64 v18, -v18, v18, s1
	s_wait_dscnt 0x4
	v_add_f32_e32 v31, v3, v31
	v_cndmask_b32_e64 v3, -v33, v33, s1
	s_wait_dscnt 0x1
	v_add_f32_e32 v20, v20, v89
	ds_bpermute_b32 v89, v2, v38
	ds_bpermute_b32 v38, v2, v33
	v_cndmask_b32_e64 v33, -v39, v39, s1
	v_add_f32_e32 v12, v12, v91
	ds_bpermute_b32 v91, v2, v25
	v_cndmask_b32_e64 v25, -v25, v25, s1
	v_cndmask_b32_e64 v39, -v40, v40, s1
	s_wait_dscnt 0x3
	v_add_f32_e32 v33, v33, v90
	ds_bpermute_b32 v90, v2, v42
	v_cndmask_b32_e64 v42, -v42, v42, s1
	s_wait_dscnt 0x3
	v_add_f32_e32 v37, v37, v89
	ds_bpermute_b32 v89, v2, v41
	v_cndmask_b32_e64 v41, -v41, v41, s1
	s_wait_dscnt 0x2
	v_dual_add_f32 v38, v3, v38 :: v_dual_add_f32 v25, v25, v91
	ds_bpermute_b32 v91, v2, v35
	v_cndmask_b32_e64 v35, -v35, v35, s1
	v_cndmask_b32_e64 v3, -v36, v36, s1
	s_wait_dscnt 0x2
	v_add_f32_e32 v42, v42, v90
	ds_bpermute_b32 v90, v2, v56
	v_add_f32_e32 v34, v34, v93
	ds_bpermute_b32 v93, v2, v49
	v_cndmask_b32_e64 v49, -v49, v49, s1
	v_add_f32_e32 v26, v26, v86
	ds_bpermute_b32 v86, v2, v45
	s_wait_dscnt 0x4
	v_add_f32_e32 v41, v41, v89
	ds_bpermute_b32 v89, v2, v53
	s_wait_dscnt 0x4
	v_add_f32_e32 v35, v35, v91
	ds_bpermute_b32 v91, v2, v47
	v_cndmask_b32_e64 v47, -v47, v47, s1
	v_add_f32_e32 v30, v30, v92
	ds_bpermute_b32 v92, v2, v40
	v_add_f32_e32 v18, v18, v87
	ds_bpermute_b32 v87, v2, v28
	v_cndmask_b32_e64 v28, -v28, v28, s1
	ds_bpermute_b32 v40, v2, v36
	v_cndmask_b32_e64 v36, -v45, v45, s1
	v_cndmask_b32_e64 v45, -v46, v46, s1
	s_wait_dscnt 0x5
	s_delay_alu instid0(VALU_DEP_2)
	v_dual_add_f32 v49, v49, v93 :: v_dual_add_f32 v36, v36, v86
	ds_bpermute_b32 v86, v2, v51
	s_wait_dscnt 0x4
	v_add_f32_e32 v47, v47, v91
	ds_bpermute_b32 v91, v2, v61
	s_wait_dscnt 0x4
	v_add_f32_e32 v39, v39, v92
	ds_bpermute_b32 v92, v2, v48
	s_wait_dscnt 0x4
	v_add_f32_e32 v28, v28, v87
	ds_bpermute_b32 v87, v2, v46
	ds_bpermute_b32 v46, v2, v43
	v_cndmask_b32_e64 v48, -v48, v48, s1
	s_wait_dscnt 0x1
	v_add_f32_e32 v45, v45, v87
	ds_bpermute_b32 v87, v2, v52
	v_cndmask_b32_e64 v52, -v52, v52, s1
	s_wait_dscnt 0x0
	s_delay_alu instid0(VALU_DEP_1)
	v_add_f32_e32 v52, v52, v87
	ds_bpermute_b32 v87, v2, v57
	v_cndmask_b32_e64 v57, -v57, v57, s1
	v_add_f32_e32 v40, v3, v40
	v_cndmask_b32_e64 v3, -v43, v43, s1
	ds_bpermute_b32 v43, v2, v8
	v_add_f32_e32 v46, v3, v46
	v_cndmask_b32_e64 v3, -v8, v8, s1
	v_cndmask_b32_e64 v8, -v51, v51, s1
	v_xor_b32_e32 v51, 4, v4
	v_add_f32_e32 v32, v32, v88
	ds_bpermute_b32 v88, v2, v84
	v_cndmask_b32_e64 v84, -v84, v84, s1
	v_cmp_gt_i32_e64 s17, 32, v51
	s_wait_dscnt 0x2
	v_add_f32_e32 v57, v57, v87
	s_wait_dscnt 0x1
	v_add_f32_e32 v43, v3, v43
	s_wait_alu 0xf1ff
	v_cndmask_b32_e64 v3, v4, v51, s17
	v_cndmask_b32_e64 v51, -v53, v53, s1
	v_cndmask_b32_e64 v53, -v56, v56, s1
	;; [unrolled: 1-line block ×3, first 2 shown]
	ds_bpermute_b32 v61, v2, v63
	v_lshlrev_b32_e32 v3, 2, v3
	v_add_f32_e32 v51, v51, v89
	v_cndmask_b32_e64 v63, -v63, v63, s1
	v_add_f32_e32 v53, v53, v90
	ds_bpermute_b32 v93, v3, v55
	ds_bpermute_b32 v94, v3, v59
	v_add_f32_e32 v48, v48, v92
	v_and_b32_e32 v92, 4, v0
	ds_bpermute_b32 v89, v3, v5
	ds_bpermute_b32 v87, v3, v68
	;; [unrolled: 1-line block ×3, first 2 shown]
	v_cmp_eq_u32_e64 s17, 0, v92
	ds_bpermute_b32 v92, v3, v6
	s_wait_alu 0xf1ff
	v_cndmask_b32_e64 v55, -v55, v55, s17
	s_wait_dscnt 0x7
	v_add_f32_e32 v84, v84, v88
	v_cndmask_b32_e64 v5, -v5, v5, s17
	ds_bpermute_b32 v88, v2, v44
	v_cndmask_b32_e64 v44, -v44, v44, s1
	v_cndmask_b32_e64 v59, -v59, v59, s17
	s_wait_dscnt 0x7
	v_add_f32_e32 v61, v63, v61
	s_wait_dscnt 0x6
	v_add_f32_e32 v55, v55, v93
	ds_bpermute_b32 v93, v3, v64
	v_cndmask_b32_e64 v64, -v64, v64, s17
	s_wait_dscnt 0x6
	v_add_f32_e32 v59, v59, v94
	s_wait_dscnt 0x5
	v_add_f32_e32 v5, v5, v89
	ds_bpermute_b32 v89, v3, v15
	v_cndmask_b32_e64 v15, -v15, v15, s17
	ds_bpermute_b32 v94, v3, v13
	v_cndmask_b32_e64 v13, -v13, v13, s17
	;; [unrolled: 2-line block ×3, first 2 shown]
	v_add_f32_e32 v8, v8, v86
	ds_bpermute_b32 v86, v2, v16
	v_cndmask_b32_e64 v16, -v16, v16, s1
	v_cndmask_b32_e64 v68, -v68, v68, s17
	;; [unrolled: 1-line block ×4, first 2 shown]
	s_wait_dscnt 0x4
	v_add_f32_e32 v64, v64, v93
	ds_bpermute_b32 v93, v3, v11
	v_cndmask_b32_e64 v11, -v11, v11, s17
	v_add_f32_e32 v56, v56, v91
	ds_bpermute_b32 v91, v3, v7
	v_cndmask_b32_e64 v7, -v7, v7, s17
	s_wait_dscnt 0x5
	v_add_f32_e32 v15, v15, v89
	ds_bpermute_b32 v89, v3, v17
	v_cndmask_b32_e64 v17, -v17, v17, s17
	s_wait_dscnt 0x5
	;; [unrolled: 4-line block ×5, first 2 shown]
	v_add_f32_e32 v7, v7, v91
	ds_bpermute_b32 v91, v3, v9
	v_cndmask_b32_e64 v9, -v9, v9, s17
	v_add_f32_e32 v44, v44, v88
	ds_bpermute_b32 v88, v3, v50
	v_cndmask_b32_e64 v50, -v50, v50, s17
	s_wait_dscnt 0x5
	v_add_f32_e32 v17, v17, v89
	ds_bpermute_b32 v89, v3, v27
	v_cndmask_b32_e64 v27, -v27, v27, s17
	s_wait_dscnt 0x5
	v_add_f32_e32 v12, v12, v94
	ds_bpermute_b32 v94, v3, v25
	v_cndmask_b32_e64 v25, -v25, v25, s17
	v_add_f32_e32 v68, v68, v87
	ds_bpermute_b32 v87, v3, v62
	v_cndmask_b32_e64 v62, -v62, v62, s17
	s_wait_dscnt 0x5
	v_add_f32_e32 v29, v29, v93
	ds_bpermute_b32 v93, v3, v33
	v_cndmask_b32_e64 v33, -v33, v33, s17
	s_wait_dscnt 0x5
	;; [unrolled: 4-line block ×5, first 2 shown]
	v_add_f32_e32 v25, v25, v94
	ds_bpermute_b32 v94, v3, v35
	v_cndmask_b32_e64 v35, -v35, v35, s17
	v_add_f32_e32 v58, v58, v85
	ds_bpermute_b32 v85, v3, v22
	v_cndmask_b32_e64 v22, -v22, v22, s17
	;; [unrolled: 3-line block ×3, first 2 shown]
	s_wait_dscnt 0x6
	v_add_f32_e32 v33, v33, v93
	ds_bpermute_b32 v93, v3, v42
	v_cndmask_b32_e64 v42, -v42, v42, s17
	s_wait_dscnt 0x6
	v_add_f32_e32 v19, v19, v91
	ds_bpermute_b32 v91, v3, v26
	v_cndmask_b32_e64 v26, -v26, v26, s17
	s_wait_dscnt 0x6
	v_add_f32_e32 v66, v66, v88
	ds_bpermute_b32 v88, v3, v21
	v_cndmask_b32_e64 v21, -v21, v21, s17
	v_add_f32_e32 v16, v16, v86
	ds_bpermute_b32 v86, v3, v54
	s_wait_dscnt 0x7
	v_add_f32_e32 v34, v34, v89
	ds_bpermute_b32 v89, v3, v48
	v_cndmask_b32_e64 v54, -v54, v54, s17
	v_cndmask_b32_e64 v48, -v48, v48, s17
	s_wait_dscnt 0x7
	v_add_f32_e32 v35, v35, v94
	ds_bpermute_b32 v94, v3, v8
	v_cndmask_b32_e64 v8, -v8, v8, s17
	s_wait_dscnt 0x6
	v_add_f32_e32 v70, v70, v90
	ds_bpermute_b32 v90, v3, v23
	v_cndmask_b32_e64 v23, -v23, v23, s17
	v_add_f32_e32 v6, v6, v92
	ds_bpermute_b32 v92, v3, v14
	v_cndmask_b32_e64 v14, -v14, v14, s17
	s_wait_dscnt 0x5
	v_add_f32_e32 v21, v21, v88
	ds_bpermute_b32 v88, v3, v30
	v_cndmask_b32_e64 v30, -v30, v30, s17
	s_wait_dscnt 0x5
	v_add_f32_e32 v54, v54, v86
	ds_bpermute_b32 v86, v3, v10
	s_wait_dscnt 0x5
	v_add_f32_e32 v48, v48, v89
	ds_bpermute_b32 v89, v3, v53
	v_cndmask_b32_e64 v53, -v53, v53, s17
	v_cndmask_b32_e64 v10, -v10, v10, s17
	s_wait_dscnt 0x4
	v_add_f32_e32 v23, v23, v90
	ds_bpermute_b32 v90, v3, v31
	v_cndmask_b32_e64 v31, -v31, v31, s17
	s_wait_dscnt 0x3
	v_add_f32_e32 v30, v30, v88
	ds_bpermute_b32 v88, v3, v39
	;; [unrolled: 4-line block ×3, first 2 shown]
	v_cndmask_b32_e64 v20, -v20, v20, s17
	s_wait_dscnt 0x3
	v_add_f32_e32 v53, v53, v89
	s_wait_dscnt 0x2
	v_add_f32_e32 v31, v31, v90
	ds_bpermute_b32 v90, v3, v40
	v_cndmask_b32_e64 v40, -v40, v40, s17
	s_wait_dscnt 0x2
	v_add_f32_e32 v39, v39, v88
	ds_bpermute_b32 v88, v3, v47
	v_cndmask_b32_e64 v47, -v47, v47, s17
	v_add_f32_e32 v22, v22, v85
	ds_bpermute_b32 v85, v3, v32
	v_cndmask_b32_e64 v32, -v32, v32, s17
	s_wait_dscnt 0x1
	v_add_f32_e32 v47, v47, v88
	ds_bpermute_b32 v88, v3, v51
	v_cndmask_b32_e64 v51, -v51, v51, s17
	s_wait_dscnt 0x1
	v_add_f32_e32 v32, v32, v85
	ds_bpermute_b32 v85, v3, v45
	v_cndmask_b32_e64 v45, -v45, v45, s17
	v_add_f32_e32 v62, v62, v87
	ds_bpermute_b32 v87, v3, v24
	v_cndmask_b32_e64 v24, -v24, v24, s17
	;; [unrolled: 3-line block ×3, first 2 shown]
	s_wait_dscnt 0x3
	v_add_f32_e32 v51, v51, v88
	s_wait_dscnt 0x2
	v_add_f32_e32 v45, v45, v85
	ds_bpermute_b32 v85, v3, v52
	v_cndmask_b32_e64 v52, -v52, v52, s17
	s_wait_dscnt 0x2
	v_add_f32_e32 v24, v24, v87
	ds_bpermute_b32 v87, v3, v38
	v_cndmask_b32_e64 v38, -v38, v38, s17
	;; [unrolled: 4-line block ×3, first 2 shown]
	v_add_f32_e32 v20, v20, v86
	ds_bpermute_b32 v86, v3, v37
	v_cndmask_b32_e64 v37, -v37, v37, s17
	v_add_f32_e32 v14, v14, v92
	ds_bpermute_b32 v92, v3, v18
	v_cndmask_b32_e64 v18, -v18, v18, s17
	s_wait_dscnt 0x4
	v_add_f32_e32 v52, v52, v85
	s_wait_dscnt 0x3
	v_add_f32_e32 v38, v38, v87
	ds_bpermute_b32 v87, v3, v41
	v_cndmask_b32_e64 v41, -v41, v41, s17
	s_wait_dscnt 0x3
	v_add_f32_e32 v43, v43, v91
	ds_bpermute_b32 v91, v3, v61
	v_cndmask_b32_e64 v61, -v61, v61, s17
	s_wait_dscnt 0x3
	v_add_f32_e32 v37, v37, v86
	ds_bpermute_b32 v86, v3, v84
	v_cndmask_b32_e64 v84, -v84, v84, s17
	s_wait_dscnt 0x2
	v_add_f32_e32 v41, v41, v87
	v_xor_b32_e32 v87, 8, v4
	s_wait_dscnt 0x1
	v_add_f32_e32 v61, v61, v91
	s_delay_alu instid0(VALU_DEP_2) | instskip(SKIP_1) | instid1(VALU_DEP_1)
	v_cmp_gt_i32_e64 s18, 32, v87
	s_wait_alu 0xf1ff
	v_cndmask_b32_e64 v85, v4, v87, s18
	ds_bpermute_b32 v87, v3, v57
	v_cndmask_b32_e64 v57, -v57, v57, s17
	v_lshlrev_b32_e32 v85, 2, v85
	ds_bpermute_b32 v88, v85, v5
	v_add_f32_e32 v40, v40, v90
	ds_bpermute_b32 v90, v3, v49
	v_cndmask_b32_e64 v49, -v49, v49, s17
	v_add_f32_e32 v18, v18, v92
	ds_bpermute_b32 v92, v3, v28
	v_cndmask_b32_e64 v28, -v28, v28, s17
	ds_bpermute_b32 v95, v85, v50
	ds_bpermute_b32 v91, v85, v6
	;; [unrolled: 1-line block ×3, first 2 shown]
	s_wait_dscnt 0x6
	v_add_f32_e32 v57, v57, v87
	ds_bpermute_b32 v87, v85, v68
	s_wait_dscnt 0x5
	v_add_f32_e32 v49, v49, v90
	ds_bpermute_b32 v90, v3, v56
	v_cndmask_b32_e64 v56, -v56, v56, s17
	s_wait_dscnt 0x5
	v_add_f32_e32 v28, v28, v92
	ds_bpermute_b32 v92, v3, v46
	v_cndmask_b32_e64 v46, -v46, v46, s17
	s_wait_dscnt 0x0
	s_delay_alu instid0(VALU_DEP_1) | instskip(SKIP_1) | instid1(VALU_DEP_1)
	v_add_f32_e32 v46, v46, v92
	v_and_b32_e32 v92, 8, v0
	v_cmp_eq_u32_e64 s18, 0, v92
	ds_bpermute_b32 v92, v85, v63
	s_wait_alu 0xf1ff
	v_cndmask_b32_e64 v50, -v50, v50, s18
	v_cndmask_b32_e64 v63, -v63, v63, s18
	v_add_f32_e32 v84, v84, v86
	ds_bpermute_b32 v86, v3, v44
	v_cndmask_b32_e64 v44, -v44, v44, s17
	v_add_f32_e32 v50, v50, v95
	ds_bpermute_b32 v95, v85, v66
	v_cndmask_b32_e64 v66, -v66, v66, s18
	v_cndmask_b32_e64 v5, -v5, v5, s18
	;; [unrolled: 1-line block ×4, first 2 shown]
	s_delay_alu instid0(VALU_DEP_2)
	v_dual_add_f32 v5, v5, v88 :: v_dual_add_f32 v88, v6, v91
	v_cndmask_b32_e64 v6, -v54, v54, s18
	s_wait_dscnt 0x2
	v_add_f32_e32 v63, v63, v92
	ds_bpermute_b32 v92, v85, v58
	v_add_f32_e32 v60, v60, v89
	ds_bpermute_b32 v89, v85, v70
	;; [unrolled: 2-line block ×3, first 2 shown]
	v_cndmask_b32_e64 v59, -v59, v59, s18
	ds_bpermute_b32 v91, v85, v14
	v_cndmask_b32_e64 v14, -v14, v14, s18
	s_wait_dscnt 0x4
	v_add_f32_e32 v66, v66, v95
	ds_bpermute_b32 v95, v85, v21
	v_add_f32_e32 v42, v42, v93
	ds_bpermute_b32 v93, v85, v55
	v_cndmask_b32_e64 v55, -v55, v55, s18
	s_wait_dscnt 0x3
	v_add_f32_e32 v59, v59, v94
	ds_bpermute_b32 v94, v85, v13
	v_cndmask_b32_e64 v13, -v13, v13, s18
	s_wait_dscnt 0x3
	v_add_f32_e32 v91, v14, v91
	ds_bpermute_b32 v14, v85, v23
	s_wait_dscnt 0x2
	v_add_f32_e32 v55, v55, v93
	ds_bpermute_b32 v93, v85, v64
	v_cndmask_b32_e64 v64, -v64, v64, s18
	s_wait_dscnt 0x0
	s_delay_alu instid0(VALU_DEP_1)
	v_add_f32_e32 v64, v64, v93
	ds_bpermute_b32 v93, v85, v11
	v_add_f32_e32 v44, v44, v86
	ds_bpermute_b32 v86, v3, v16
	v_cndmask_b32_e64 v16, -v16, v16, s17
	s_wait_dscnt 0x0
	s_delay_alu instid0(VALU_DEP_1)
	v_add_f32_e32 v16, v16, v86
	ds_bpermute_b32 v86, v85, v54
	v_cndmask_b32_e64 v54, -v68, v68, s18
	ds_bpermute_b32 v68, v85, v15
	v_dual_add_f32 v54, v54, v87 :: v_dual_add_f32 v87, v13, v94
	v_cndmask_b32_e64 v13, -v70, v70, s18
	ds_bpermute_b32 v70, v85, v62
	ds_bpermute_b32 v94, v85, v12
	v_add_f32_e32 v89, v13, v89
	ds_bpermute_b32 v13, v85, v17
	s_wait_dscnt 0x4
	v_add_f32_e32 v86, v6, v86
	v_cndmask_b32_e64 v6, -v15, v15, s18
	v_cndmask_b32_e64 v15, -v58, v58, s18
	ds_bpermute_b32 v58, v85, v10
	s_wait_dscnt 0x4
	v_add_f32_e32 v68, v6, v68
	v_add_f32_e32 v92, v15, v92
	ds_bpermute_b32 v15, v85, v19
	v_cndmask_b32_e64 v6, -v10, v10, s18
	v_cndmask_b32_e64 v10, -v11, v11, s18
	;; [unrolled: 1-line block ×4, first 2 shown]
	ds_bpermute_b32 v21, v85, v18
	v_add_f32_e32 v93, v10, v93
	v_cndmask_b32_e64 v10, -v19, v19, s18
	ds_bpermute_b32 v19, v85, v29
	s_wait_dscnt 0x5
	v_dual_add_f32 v94, v11, v94 :: v_dual_add_f32 v95, v12, v95
	v_cndmask_b32_e64 v11, -v18, v18, s18
	v_cndmask_b32_e64 v12, -v22, v22, s18
	ds_bpermute_b32 v18, v85, v24
	s_wait_dscnt 0x4
	v_add_f32_e32 v58, v6, v58
	v_cndmask_b32_e64 v6, -v17, v17, s18
	ds_bpermute_b32 v17, v85, v20
	s_wait_dscnt 0x4
	v_add_f32_e32 v98, v10, v15
	v_cndmask_b32_e64 v10, -v29, v29, s18
	v_add_f32_e32 v56, v56, v90
	ds_bpermute_b32 v90, v85, v7
	v_cndmask_b32_e64 v7, -v7, v7, s18
	ds_bpermute_b32 v15, v85, v26
	s_wait_dscnt 0x5
	v_add_f32_e32 v99, v11, v21
	ds_bpermute_b32 v21, v85, v32
	v_cndmask_b32_e64 v11, -v25, v25, s18
	s_wait_dscnt 0x5
	v_add_f32_e32 v101, v10, v19
	ds_bpermute_b32 v19, v85, v33
	v_cndmask_b32_e64 v10, -v26, v26, s18
	;; [unrolled: 4-line block ×3, first 2 shown]
	s_wait_dscnt 0x3
	v_add_f32_e32 v105, v10, v15
	v_cndmask_b32_e64 v10, -v33, v33, s18
	ds_bpermute_b32 v15, v85, v36
	s_wait_dscnt 0x2
	v_add_f32_e32 v108, v10, v19
	ds_bpermute_b32 v19, v85, v47
	v_cndmask_b32_e64 v10, -v36, v36, s18
	s_wait_dscnt 0x2
	v_add_f32_e32 v90, v9, v90
	v_cndmask_b32_e64 v9, -v62, v62, s18
	ds_bpermute_b32 v62, v85, v22
	ds_bpermute_b32 v22, v85, v25
	v_add_f32_e32 v70, v9, v70
	v_cndmask_b32_e64 v9, -v23, v23, s18
	ds_bpermute_b32 v23, v85, v30
	v_add_f32_e32 v97, v9, v14
	ds_bpermute_b32 v14, v85, v31
	v_cndmask_b32_e64 v9, -v24, v24, s18
	s_delay_alu instid0(VALU_DEP_1)
	v_add_f32_e32 v100, v9, v18
	ds_bpermute_b32 v18, v85, v38
	v_cndmask_b32_e64 v9, -v31, v31, s18
	s_wait_dscnt 0x4
	v_add_f32_e32 v62, v12, v62
	v_cndmask_b32_e64 v12, -v30, v30, s18
	s_wait_dscnt 0x2
	s_delay_alu instid0(VALU_DEP_1) | instskip(SKIP_2) | instid1(VALU_DEP_1)
	v_add_f32_e32 v103, v12, v23
	ds_bpermute_b32 v23, v85, v39
	v_cndmask_b32_e64 v12, -v32, v32, s18
	v_add_f32_e32 v107, v12, v21
	v_cndmask_b32_e64 v12, -v39, v39, s18
	ds_bpermute_b32 v21, v85, v84
	s_wait_dscnt 0x1
	v_add_f32_e32 v110, v12, v23
	v_cndmask_b32_e64 v23, -v84, v84, s18
	v_add_f32_e32 v84, v10, v15
	v_cndmask_b32_e64 v15, -v47, v47, s18
	v_cndmask_b32_e64 v10, -v46, v46, s18
	ds_bpermute_b32 v12, v85, v41
	v_add_f32_e32 v116, v15, v19
	ds_bpermute_b32 v15, v85, v51
	v_add_f32_e32 v96, v6, v13
	ds_bpermute_b32 v13, v85, v27
	v_cndmask_b32_e64 v6, -v20, v20, s18
	ds_bpermute_b32 v20, v85, v28
	v_dual_add_f32 v30, v6, v17 :: v_dual_and_b32 v19, 16, v0
	v_cndmask_b32_e64 v6, -v27, v27, s18
	ds_bpermute_b32 v17, v85, v37
	s_wait_dscnt 0x2
	v_add_f32_e32 v32, v6, v13
	ds_bpermute_b32 v13, v85, v34
	v_cndmask_b32_e64 v6, -v37, v37, s18
	s_wait_dscnt 0x1
	s_delay_alu instid0(VALU_DEP_1)
	v_add_f32_e32 v33, v6, v17
	v_cndmask_b32_e64 v6, -v34, v34, s18
	ds_bpermute_b32 v17, v85, v46
	s_wait_dscnt 0x1
	v_add_f32_e32 v34, v6, v13
	ds_bpermute_b32 v13, v85, v8
	v_cndmask_b32_e64 v8, -v8, v8, s18
	v_cndmask_b32_e64 v6, -v41, v41, s18
	s_delay_alu instid0(VALU_DEP_1)
	v_add_f32_e32 v113, v6, v12
	s_wait_dscnt 0x1
	v_add_f32_e32 v114, v10, v17
	v_xor_b32_e32 v10, 16, v4
	ds_bpermute_b32 v17, v85, v53
	v_cndmask_b32_e64 v6, -v49, v49, s18
	v_cndmask_b32_e64 v12, -v43, v43, s18
	v_cmp_gt_i32_e64 s19, 32, v10
	s_wait_alu 0xf1ff
	s_delay_alu instid0(VALU_DEP_1)
	v_cndmask_b32_e64 v4, v4, v10, s19
	s_wait_dscnt 0x1
	v_add_f32_e32 v120, v8, v13
	ds_bpermute_b32 v13, v85, v57
	v_cndmask_b32_e64 v10, -v53, v53, s18
	v_cndmask_b32_e64 v8, -v44, v44, s18
	v_lshlrev_b32_e32 v121, 2, v4
	ds_bpermute_b32 v4, v85, v56
	ds_bpermute_b32 v47, v121, v103
	s_wait_dscnt 0x3
	v_add_f32_e32 v124, v10, v17
	v_cndmask_b32_e64 v10, -v57, v57, s18
	ds_bpermute_b32 v17, v121, v5
	v_add_f32_e32 v102, v11, v22
	v_cndmask_b32_e64 v11, -v28, v28, s18
	ds_bpermute_b32 v22, v85, v35
	ds_bpermute_b32 v28, v121, v70
	;; [unrolled: 1-line block ×4, first 2 shown]
	v_add_f32_e32 v106, v11, v20
	ds_bpermute_b32 v20, v85, v45
	s_wait_dscnt 0x8
	v_add_f32_e32 v128, v10, v13
	ds_bpermute_b32 v13, v121, v63
	v_add_f32_e32 v104, v9, v14
	ds_bpermute_b32 v14, v85, v40
	v_cndmask_b32_e64 v9, -v38, v38, s18
	v_cndmask_b32_e64 v11, -v35, v35, s18
	ds_bpermute_b32 v24, v121, v90
	ds_bpermute_b32 v41, v121, v99
	;; [unrolled: 1-line block ×3, first 2 shown]
	v_add_f32_e32 v35, v9, v18
	ds_bpermute_b32 v18, v85, v42
	v_cndmask_b32_e64 v9, -v40, v40, s18
	ds_bpermute_b32 v37, v121, v95
	ds_bpermute_b32 v39, v121, v97
	s_wait_dscnt 0xc
	v_add_f32_e32 v109, v11, v22
	v_cndmask_b32_e64 v11, -v45, v45, s18
	ds_bpermute_b32 v22, v85, v48
	ds_bpermute_b32 v45, v121, v101
	;; [unrolled: 1-line block ×3, first 2 shown]
	s_wait_dscnt 0xb
	v_add_f32_e32 v111, v11, v20
	ds_bpermute_b32 v11, v85, v43
	ds_bpermute_b32 v20, v85, v52
	s_wait_dscnt 0xb
	v_add_f32_e32 v36, v9, v14
	ds_bpermute_b32 v9, v85, v49
	v_cndmask_b32_e64 v14, -v42, v42, s18
	s_wait_dscnt 0x8
	s_delay_alu instid0(VALU_DEP_1)
	v_add_f32_e32 v115, v14, v18
	ds_bpermute_b32 v14, v85, v44
	ds_bpermute_b32 v18, v121, v55
	;; [unrolled: 1-line block ×3, first 2 shown]
	s_wait_dscnt 0x5
	v_add_f32_e32 v119, v12, v11
	ds_bpermute_b32 v11, v85, v61
	ds_bpermute_b32 v12, v85, v16
	s_wait_dscnt 0x5
	v_add_f32_e32 v118, v6, v9
	v_cndmask_b32_e64 v6, -v52, v52, s18
	v_cndmask_b32_e64 v9, -v51, v51, s18
	ds_bpermute_b32 v52, v121, v33
	ds_bpermute_b32 v51, v121, v107
	v_add_f32_e32 v85, v6, v20
	ds_bpermute_b32 v20, v121, v7
	s_wait_dscnt 0x7
	v_dual_add_f32 v122, v8, v14 :: v_dual_add_f32 v123, v9, v15
	v_cndmask_b32_e64 v6, -v56, v56, s18
	v_cndmask_b32_e64 v8, -v61, v61, s18
	;; [unrolled: 1-line block ×3, first 2 shown]
	ds_bpermute_b32 v31, v121, v94
	v_add_f32_e32 v112, v23, v21
	v_cndmask_b32_e64 v21, -v48, v48, s18
	v_cmp_eq_u32_e64 s18, 0, v19
	ds_bpermute_b32 v15, v121, v59
	ds_bpermute_b32 v16, v121, v50
	;; [unrolled: 1-line block ×3, first 2 shown]
	v_add_f32_e32 v125, v6, v4
	s_wait_alu 0xf1ff
	v_cndmask_b32_e64 v14, -v55, v55, s18
	s_wait_dscnt 0x7
	v_dual_add_f32 v126, v8, v11 :: v_dual_add_f32 v127, v9, v12
	v_cndmask_b32_e64 v9, -v5, v5, s18
	v_cndmask_b32_e64 v11, -v7, v7, s18
	v_add_f32_e32 v4, v14, v18
	ds_bpermute_b32 v18, v121, v54
	v_add_f32_e32 v117, v21, v22
	ds_bpermute_b32 v12, v121, v88
	ds_bpermute_b32 v14, v121, v86
	;; [unrolled: 1-line block ×3, first 2 shown]
	v_add_f32_e32 v7, v9, v17
	s_wait_dscnt 0x8
	v_add_f32_e32 v9, v11, v20
	ds_bpermute_b32 v20, v121, v66
	v_cndmask_b32_e64 v6, -v59, v59, s18
	v_cndmask_b32_e64 v8, -v50, v50, s18
	ds_bpermute_b32 v22, v121, v68
	v_cndmask_b32_e64 v10, -v60, v60, s18
	v_cndmask_b32_e64 v11, -v63, v63, s18
	s_wait_dscnt 0x7
	v_dual_add_f32 v5, v6, v15 :: v_dual_add_f32 v6, v8, v16
	v_cndmask_b32_e64 v16, -v54, v54, s18
	s_wait_dscnt 0x6
	v_add_f32_e32 v8, v10, v19
	v_cndmask_b32_e64 v10, -v88, v88, s18
	v_cndmask_b32_e64 v15, -v86, v86, s18
	;; [unrolled: 1-line block ×3, first 2 shown]
	ds_bpermute_b32 v19, v121, v87
	ds_bpermute_b32 v23, v121, v89
	v_add_f32_e32 v11, v11, v13
	s_wait_dscnt 0x7
	v_add_f32_e32 v13, v16, v18
	v_cndmask_b32_e64 v16, -v66, v66, s18
	ds_bpermute_b32 v38, v121, v96
	ds_bpermute_b32 v59, v121, v111
	s_wait_dscnt 0x8
	v_add_f32_e32 v10, v10, v12
	ds_bpermute_b32 v61, v121, v113
	s_wait_dscnt 0x8
	v_add_f32_e32 v12, v15, v14
	;; [unrolled: 3-line block ×3, first 2 shown]
	v_cndmask_b32_e64 v17, -v68, v68, s18
	ds_bpermute_b32 v66, v121, v117
	s_wait_dscnt 0x8
	v_add_f32_e32 v16, v16, v20
	v_cndmask_b32_e64 v20, -v91, v91, s18
	ds_bpermute_b32 v40, v121, v98
	s_wait_dscnt 0x8
	v_add_f32_e32 v17, v17, v22
	v_cndmask_b32_e64 v22, -v58, v58, s18
	v_cndmask_b32_e64 v15, -v87, v87, s18
	v_add_f32_e32 v20, v20, v25
	v_cndmask_b32_e64 v25, -v94, v94, s18
	v_cndmask_b32_e64 v18, -v89, v89, s18
	;; [unrolled: 1-line block ×3, first 2 shown]
	v_add_f32_e32 v22, v22, v27
	v_cndmask_b32_e64 v27, -v96, v96, s18
	ds_bpermute_b32 v42, v121, v62
	ds_bpermute_b32 v43, v121, v30
	;; [unrolled: 1-line block ×3, first 2 shown]
	v_add_f32_e32 v25, v25, v31
	v_cndmask_b32_e64 v31, -v99, v99, s18
	s_wait_dscnt 0xa
	v_add_f32_e32 v15, v15, v19
	s_wait_dscnt 0x9
	v_dual_add_f32 v18, v18, v23 :: v_dual_add_f32 v19, v21, v24
	v_cndmask_b32_e64 v21, -v92, v92, s18
	v_cndmask_b32_e64 v23, -v70, v70, s18
	;; [unrolled: 1-line block ×3, first 2 shown]
	s_wait_dscnt 0x8
	v_add_f32_e32 v27, v27, v38
	v_cndmask_b32_e64 v38, -v30, v30, s18
	ds_bpermute_b32 v50, v121, v105
	v_add_f32_e32 v30, v31, v41
	v_cndmask_b32_e64 v41, -v103, v103, s18
	v_cndmask_b32_e64 v33, -v33, v33, s18
	v_add_f32_e32 v21, v21, v26
	v_add_f32_e32 v23, v23, v28
	v_cndmask_b32_e64 v26, -v95, v95, s18
	v_cndmask_b32_e64 v28, -v97, v97, s18
	v_add_f32_e32 v41, v41, v47
	v_add_f32_e32 v47, v33, v52
	ds_bpermute_b32 v88, v121, v124
	v_add_f32_e32 v24, v24, v29
	v_cndmask_b32_e64 v29, -v98, v98, s18
	v_add_f32_e32 v26, v26, v37
	v_add_f32_e32 v28, v28, v39
	v_cndmask_b32_e64 v37, -v62, v62, s18
	v_cndmask_b32_e64 v39, -v100, v100, s18
	s_wait_dscnt 0x5
	v_add_f32_e32 v29, v29, v40
	v_cndmask_b32_e64 v40, -v101, v101, s18
	ds_bpermute_b32 v48, v121, v32
	ds_bpermute_b32 v46, v121, v102
	s_wait_dscnt 0x6
	v_add_f32_e32 v31, v37, v42
	s_wait_dscnt 0x4
	v_dual_add_f32 v37, v38, v43 :: v_dual_add_f32 v38, v39, v44
	v_add_f32_e32 v39, v40, v45
	v_cndmask_b32_e64 v44, -v105, v105, s18
	ds_bpermute_b32 v45, v121, v106
	ds_bpermute_b32 v55, v121, v110
	;; [unrolled: 1-line block ×3, first 2 shown]
	v_cndmask_b32_e64 v32, -v32, v32, s18
	s_wait_dscnt 0x6
	v_add_f32_e32 v44, v44, v50
	ds_bpermute_b32 v50, v121, v109
	ds_bpermute_b32 v56, v121, v34
	;; [unrolled: 1-line block ×3, first 2 shown]
	v_cndmask_b32_e64 v40, -v102, v102, s18
	ds_bpermute_b32 v54, v121, v108
	ds_bpermute_b32 v57, v121, v36
	;; [unrolled: 1-line block ×3, first 2 shown]
	v_cndmask_b32_e64 v33, -v110, v110, s18
	s_wait_dscnt 0xa
	v_add_f32_e32 v42, v32, v48
	v_cndmask_b32_e64 v32, -v106, v106, s18
	s_wait_dscnt 0x9
	v_add_f32_e32 v40, v40, v46
	v_cndmask_b32_e64 v46, -v107, v107, s18
	ds_bpermute_b32 v62, v121, v114
	v_cndmask_b32_e64 v43, -v104, v104, s18
	v_cndmask_b32_e64 v35, -v35, v35, s18
	s_wait_dscnt 0x9
	v_add_f32_e32 v45, v32, v45
	v_cndmask_b32_e64 v32, -v109, v109, s18
	v_add_f32_e32 v46, v46, v51
	v_cndmask_b32_e64 v34, -v34, v34, s18
	s_wait_dscnt 0x8
	v_add_f32_e32 v51, v33, v55
	v_cndmask_b32_e64 v33, -v112, v112, s18
	s_wait_dscnt 0x6
	v_add_f32_e32 v50, v32, v50
	v_cndmask_b32_e64 v32, -v111, v111, s18
	ds_bpermute_b32 v64, v121, v116
	ds_bpermute_b32 v68, v121, v118
	v_add_f32_e32 v43, v43, v49
	v_cndmask_b32_e64 v49, -v108, v108, s18
	v_add_f32_e32 v48, v35, v53
	v_cndmask_b32_e64 v35, -v36, v36, s18
	v_cndmask_b32_e64 v36, -v84, v84, s18
	s_wait_dscnt 0x7
	v_add_f32_e32 v52, v34, v56
	ds_bpermute_b32 v70, v121, v119
	ds_bpermute_b32 v84, v121, v120
	s_wait_dscnt 0x8
	v_dual_add_f32 v55, v32, v59 :: v_dual_add_f32 v56, v33, v60
	ds_bpermute_b32 v32, v121, v85
	ds_bpermute_b32 v33, v121, v122
	s_wait_dscnt 0x9
	v_add_f32_e32 v49, v49, v54
	s_wait_dscnt 0x7
	v_dual_add_f32 v53, v35, v57 :: v_dual_add_f32 v54, v36, v58
	v_cndmask_b32_e64 v34, -v113, v113, s18
	v_cndmask_b32_e64 v35, -v114, v114, s18
	;; [unrolled: 1-line block ×3, first 2 shown]
	ds_bpermute_b32 v87, v121, v123
	ds_bpermute_b32 v89, v121, v125
	s_wait_dscnt 0x8
	v_dual_add_f32 v57, v34, v61 :: v_dual_add_f32 v58, v35, v62
	v_add_f32_e32 v59, v36, v63
	v_cndmask_b32_e64 v34, -v116, v116, s18
	v_cndmask_b32_e64 v35, -v117, v117, s18
	;; [unrolled: 1-line block ×5, first 2 shown]
	s_wait_dscnt 0x7
	v_dual_add_f32 v60, v34, v64 :: v_dual_add_f32 v61, v35, v66
	s_wait_dscnt 0x6
	v_add_f32_e32 v62, v36, v68
	v_cndmask_b32_e64 v34, -v85, v85, s18
	v_cndmask_b32_e64 v35, -v122, v122, s18
	ds_bpermute_b32 v36, v121, v126
	s_wait_dscnt 0x5
	v_dual_add_f32 v63, v63, v70 :: v_dual_add_f32 v64, v86, v84
	ds_bpermute_b32 v68, v121, v128
	s_wait_dscnt 0x4
	v_dual_add_f32 v84, v34, v32 :: v_dual_add_f32 v85, v35, v33
	v_cndmask_b32_e64 v32, -v123, v123, s18
	v_cndmask_b32_e64 v33, -v124, v124, s18
	v_and_b32_e32 v35, 7, v0
	v_lshrrev_b32_e32 v70, 3, v0
	v_cndmask_b32_e64 v34, -v125, v125, s18
	s_wait_dscnt 0x3
	v_dual_add_f32 v86, v32, v87 :: v_dual_add_f32 v87, v33, v88
	v_lshrrev_b32_e32 v32, 5, v0
	v_lshl_or_b32 v33, v35, 5, v70
	s_wait_dscnt 0x2
	v_add_f32_e32 v88, v34, v89
	v_cndmask_b32_e64 v34, -v126, v126, s18
	v_cndmask_b32_e64 v91, -v128, v128, s18
	v_xor_b32_e32 v0, v32, v0
	v_xor_b32_e32 v32, v33, v35
	ds_bpermute_b32 v66, v121, v127
	s_wait_dscnt 0x2
	v_add_f32_e32 v89, v34, v36
	v_cndmask_b32_e64 v70, -v127, v127, s18
	v_lshl_add_u32 v36, v0, 4, 0
	v_lshl_add_u32 v32, v32, 4, 0
	s_wait_dscnt 0x1
	v_add_f32_e32 v91, v91, v68
	ds_store_b128 v36, v[4:7]
	ds_store_b128 v36, v[8:11] offset:4096
	ds_store_b128 v36, v[12:15] offset:8192
	;; [unrolled: 1-line block ×7, first 2 shown]
	s_wait_loadcnt_dscnt 0x0
	s_barrier_signal -1
	s_barrier_wait -1
	global_inv scope:SCOPE_SE
	ds_load_b128 v[4:7], v32
	ds_load_b128 v[8:11], v32 offset:4096
	ds_load_b128 v[12:15], v32 offset:8192
	;; [unrolled: 1-line block ×7, first 2 shown]
	s_wait_loadcnt_dscnt 0x0
	s_barrier_signal -1
	s_barrier_wait -1
	global_inv scope:SCOPE_SE
	v_add_f32_e32 v90, v70, v66
	ds_bpermute_b32 v0, v1, v4
	ds_bpermute_b32 v33, v1, v5
	v_cndmask_b32_e64 v4, -v4, v4, s0
	v_cndmask_b32_e64 v5, -v5, v5, s0
	ds_bpermute_b32 v34, v1, v6
	ds_bpermute_b32 v35, v1, v7
	;; [unrolled: 1-line block ×8, first 2 shown]
	v_cndmask_b32_e64 v13, -v13, v13, s0
	v_cndmask_b32_e64 v14, -v14, v14, s0
	;; [unrolled: 1-line block ×3, first 2 shown]
	s_wait_dscnt 0x9
	v_add_f32_e32 v0, v4, v0
	s_wait_dscnt 0x8
	v_add_f32_e32 v4, v5, v33
	v_cndmask_b32_e64 v5, -v6, v6, s0
	v_cndmask_b32_e64 v6, -v7, v7, s0
	;; [unrolled: 1-line block ×5, first 2 shown]
	ds_bpermute_b32 v10, v1, v11
	ds_bpermute_b32 v33, v1, v12
	s_wait_dscnt 0x8
	v_dual_add_f32 v5, v5, v34 :: v_dual_add_f32 v6, v6, v35
	v_cndmask_b32_e64 v11, -v11, v11, s0
	v_cndmask_b32_e64 v12, -v12, v12, s0
	ds_bpermute_b32 v34, v1, v16
	ds_bpermute_b32 v35, v1, v17
	s_wait_dscnt 0x8
	v_dual_add_f32 v7, v7, v66 :: v_dual_add_f32 v8, v8, v68
	s_wait_dscnt 0x7
	v_add_f32_e32 v9, v9, v70
	ds_bpermute_b32 v66, v1, v18
	ds_bpermute_b32 v68, v1, v19
	;; [unrolled: 1-line block ×3, first 2 shown]
	s_wait_dscnt 0x5
	v_dual_add_f32 v10, v11, v10 :: v_dual_add_f32 v11, v12, v33
	v_dual_add_f32 v12, v13, v92 :: v_dual_add_f32 v13, v14, v93
	v_add_f32_e32 v14, v15, v94
	v_cndmask_b32_e64 v15, -v16, v16, s0
	v_cndmask_b32_e64 v16, -v17, v17, s0
	;; [unrolled: 1-line block ×5, first 2 shown]
	ds_bpermute_b32 v20, v1, v21
	ds_bpermute_b32 v33, v1, v22
	;; [unrolled: 1-line block ×5, first 2 shown]
	s_wait_dscnt 0x8
	v_dual_add_f32 v15, v15, v34 :: v_dual_add_f32 v16, v16, v35
	v_cndmask_b32_e64 v21, -v21, v21, s0
	v_cndmask_b32_e64 v22, -v22, v22, s0
	;; [unrolled: 1-line block ×5, first 2 shown]
	ds_bpermute_b32 v34, v1, v26
	ds_bpermute_b32 v35, v1, v27
	s_wait_dscnt 0x8
	v_dual_add_f32 v17, v17, v66 :: v_dual_add_f32 v18, v18, v68
	s_wait_dscnt 0x7
	v_add_f32_e32 v19, v19, v70
	ds_bpermute_b32 v66, v1, v28
	ds_bpermute_b32 v68, v1, v29
	;; [unrolled: 1-line block ×3, first 2 shown]
	s_wait_dscnt 0x8
	v_dual_add_f32 v20, v21, v20 :: v_dual_add_f32 v21, v22, v33
	s_wait_dscnt 0x6
	v_dual_add_f32 v22, v23, v92 :: v_dual_add_f32 v23, v24, v93
	s_wait_dscnt 0x5
	v_add_f32_e32 v24, v25, v94
	v_cndmask_b32_e64 v25, -v26, v26, s0
	v_cndmask_b32_e64 v26, -v27, v27, s0
	;; [unrolled: 1-line block ×5, first 2 shown]
	ds_bpermute_b32 v30, v1, v31
	ds_bpermute_b32 v33, v1, v37
	ds_bpermute_b32 v92, v1, v38
	ds_bpermute_b32 v94, v1, v40
	s_wait_dscnt 0x7
	v_dual_add_f32 v25, v25, v34 :: v_dual_add_f32 v26, v26, v35
	v_cndmask_b32_e64 v31, -v31, v31, s0
	v_cndmask_b32_e64 v34, -v37, v37, s0
	;; [unrolled: 1-line block ×4, first 2 shown]
	s_wait_dscnt 0x6
	v_add_f32_e32 v27, v27, v66
	s_wait_dscnt 0x4
	v_add_f32_e32 v29, v29, v70
	ds_bpermute_b32 v93, v1, v39
	v_add_f32_e32 v28, v28, v68
	v_cndmask_b32_e64 v37, -v39, v39, s0
	s_wait_dscnt 0x3
	v_dual_add_f32 v30, v31, v30 :: v_dual_add_f32 v31, v34, v33
	s_wait_dscnt 0x2
	v_add_f32_e32 v33, v35, v92
	s_wait_dscnt 0x1
	v_add_f32_e32 v35, v38, v94
	ds_store_b128 v36, v[41:44]
	ds_store_b128 v36, v[45:48] offset:4096
	ds_store_b128 v36, v[49:52] offset:8192
	ds_store_b128 v36, v[53:56] offset:12288
	ds_store_b128 v36, v[57:60] offset:16384
	ds_store_b128 v36, v[61:64] offset:20480
	ds_store_b128 v36, v[84:87] offset:24576
	ds_store_b128 v36, v[88:91] offset:28672
	s_wait_loadcnt_dscnt 0x0
	s_barrier_signal -1
	s_barrier_wait -1
	global_inv scope:SCOPE_SE
	ds_load_b128 v[41:44], v32
	ds_load_b128 v[45:48], v32 offset:4096
	ds_load_b128 v[49:52], v32 offset:8192
	;; [unrolled: 1-line block ×7, first 2 shown]
	s_wait_loadcnt_dscnt 0x0
	v_add_f32_e32 v34, v37, v93
	s_barrier_signal -1
	s_barrier_wait -1
	global_inv scope:SCOPE_SE
	ds_bpermute_b32 v39, v1, v41
	ds_bpermute_b32 v40, v1, v42
	;; [unrolled: 1-line block ×5, first 2 shown]
	v_cndmask_b32_e64 v37, -v41, v41, s0
	v_cndmask_b32_e64 v38, -v42, v42, s0
	v_cndmask_b32_e64 v41, -v43, v43, s0
	v_cndmask_b32_e64 v42, -v44, v44, s0
	v_cndmask_b32_e64 v43, -v45, v45, s0
	ds_bpermute_b32 v44, v1, v46
	ds_bpermute_b32 v45, v1, v47
	ds_bpermute_b32 v92, v1, v48
	ds_bpermute_b32 v93, v1, v49
	ds_bpermute_b32 v94, v1, v50
	s_wait_dscnt 0x8
	v_dual_add_f32 v37, v37, v39 :: v_dual_add_f32 v38, v38, v40
	s_wait_dscnt 0x6
	v_dual_add_f32 v39, v41, v66 :: v_dual_add_f32 v40, v42, v68
	s_wait_dscnt 0x5
	v_add_f32_e32 v41, v43, v70
	v_cndmask_b32_e64 v42, -v46, v46, s0
	v_cndmask_b32_e64 v43, -v47, v47, s0
	v_cndmask_b32_e64 v46, -v48, v48, s0
	v_cndmask_b32_e64 v47, -v49, v49, s0
	v_cndmask_b32_e64 v48, -v50, v50, s0
	ds_bpermute_b32 v49, v1, v51
	ds_bpermute_b32 v50, v1, v52
	ds_bpermute_b32 v66, v1, v53
	ds_bpermute_b32 v68, v1, v54
	ds_bpermute_b32 v70, v1, v55
	s_wait_dscnt 0x8
	v_dual_add_f32 v42, v42, v44 :: v_dual_add_f32 v43, v43, v45
	s_wait_dscnt 0x6
	v_dual_add_f32 v44, v46, v92 :: v_dual_add_f32 v45, v47, v93
	s_wait_dscnt 0x5
	v_add_f32_e32 v46, v48, v94
	;; [unrolled: 16-line block ×4, first 2 shown]
	v_cndmask_b32_e64 v58, -v62, v62, s0
	v_cndmask_b32_e64 v62, -v64, v64, s0
	ds_bpermute_b32 v64, v1, v85
	ds_bpermute_b32 v92, v1, v87
	;; [unrolled: 1-line block ×4, first 2 shown]
	v_cndmask_b32_e64 v57, -v61, v61, s0
	v_cndmask_b32_e64 v61, -v63, v63, s0
	;; [unrolled: 1-line block ×3, first 2 shown]
	ds_bpermute_b32 v84, v1, v86
	s_wait_dscnt 0x8
	v_dual_add_f32 v57, v57, v59 :: v_dual_add_f32 v58, v58, v60
	s_wait_dscnt 0x6
	v_dual_add_f32 v59, v61, v66 :: v_dual_add_f32 v60, v62, v68
	s_wait_dscnt 0x5
	v_add_f32_e32 v61, v63, v70
	v_cndmask_b32_e64 v62, -v85, v85, s0
	v_cndmask_b32_e64 v63, -v86, v86, s0
	;; [unrolled: 1-line block ×5, first 2 shown]
	ds_bpermute_b32 v85, v1, v90
	ds_bpermute_b32 v1, v1, v91
	;; [unrolled: 1-line block ×5, first 2 shown]
	s_wait_dscnt 0x9
	v_add_f32_e32 v62, v62, v64
	s_wait_dscnt 0x8
	v_add_f32_e32 v64, v66, v92
	;; [unrolled: 2-line block ×4, first 2 shown]
	v_cndmask_b32_e64 v70, -v90, v90, s0
	ds_bpermute_b32 v89, v2, v6
	ds_bpermute_b32 v90, v2, v7
	s_wait_dscnt 0x7
	v_add_f32_e32 v63, v63, v84
	v_cndmask_b32_e64 v84, -v91, v91, s0
	v_cndmask_b32_e64 v0, -v0, v0, s1
	;; [unrolled: 1-line block ×4, first 2 shown]
	ds_bpermute_b32 v91, v2, v8
	ds_bpermute_b32 v92, v2, v9
	v_cndmask_b32_e64 v6, -v6, v6, s1
	v_cndmask_b32_e64 v7, -v7, v7, s1
	s_wait_dscnt 0x7
	v_add_f32_e32 v1, v84, v1
	s_wait_dscnt 0x6
	v_add_f32_e32 v0, v0, v86
	ds_bpermute_b32 v84, v2, v11
	ds_bpermute_b32 v86, v2, v13
	v_add_f32_e32 v70, v70, v85
	s_wait_dscnt 0x6
	v_dual_add_f32 v4, v4, v87 :: v_dual_add_f32 v5, v5, v88
	ds_bpermute_b32 v85, v2, v12
	ds_bpermute_b32 v87, v2, v14
	;; [unrolled: 1-line block ×3, first 2 shown]
	s_wait_dscnt 0x7
	v_dual_add_f32 v6, v6, v89 :: v_dual_add_f32 v89, v7, v90
	v_cndmask_b32_e64 v7, -v11, v11, s1
	v_cndmask_b32_e64 v11, -v12, v12, s1
	;; [unrolled: 1-line block ×5, first 2 shown]
	ds_bpermute_b32 v15, v2, v16
	v_cndmask_b32_e64 v8, -v8, v8, s1
	v_cndmask_b32_e64 v9, -v9, v9, s1
	ds_bpermute_b32 v90, v2, v17
	ds_bpermute_b32 v93, v2, v10
	s_wait_dscnt 0x7
	v_add_f32_e32 v84, v7, v84
	v_dual_add_f32 v8, v8, v91 :: v_dual_add_f32 v9, v9, v92
	ds_bpermute_b32 v91, v2, v18
	ds_bpermute_b32 v92, v2, v19
	s_wait_dscnt 0x8
	v_add_f32_e32 v86, v12, v86
	v_cndmask_b32_e64 v7, -v16, v16, s1
	v_cndmask_b32_e64 v12, -v18, v18, s1
	;; [unrolled: 1-line block ×3, first 2 shown]
	ds_bpermute_b32 v18, v2, v21
	ds_bpermute_b32 v19, v2, v22
	s_wait_dscnt 0x8
	v_add_f32_e32 v13, v13, v87
	ds_bpermute_b32 v87, v2, v24
	v_add_f32_e32 v85, v11, v85
	v_cndmask_b32_e64 v11, -v17, v17, s1
	s_wait_dscnt 0x7
	v_add_f32_e32 v15, v7, v15
	v_cndmask_b32_e64 v7, -v21, v21, s1
	ds_bpermute_b32 v21, v2, v26
	v_cndmask_b32_e64 v10, -v10, v10, s1
	s_wait_dscnt 0x7
	v_add_f32_e32 v90, v11, v90
	v_cndmask_b32_e64 v11, -v22, v22, s1
	ds_bpermute_b32 v22, v2, v27
	v_cndmask_b32_e64 v17, -v20, v20, s1
	v_add_f32_e32 v14, v14, v88
	s_wait_dscnt 0x5
	v_add_f32_e32 v92, v16, v92
	v_cndmask_b32_e64 v16, -v24, v24, s1
	ds_bpermute_b32 v24, v2, v29
	ds_bpermute_b32 v88, v2, v25
	s_wait_dscnt 0x6
	v_dual_add_f32 v91, v12, v91 :: v_dual_add_f32 v18, v7, v18
	s_wait_dscnt 0x5
	v_add_f32_e32 v94, v11, v19
	v_cndmask_b32_e64 v7, -v26, v26, s1
	ds_bpermute_b32 v19, v2, v31
	s_wait_dscnt 0x5
	v_add_f32_e32 v87, v16, v87
	v_cndmask_b32_e64 v16, -v29, v29, s1
	v_cndmask_b32_e64 v11, -v27, v27, s1
	ds_bpermute_b32 v27, v2, v35
	s_wait_dscnt 0x5
	v_add_f32_e32 v29, v7, v21
	ds_bpermute_b32 v21, v2, v38
	v_cndmask_b32_e64 v7, -v31, v31, s1
	v_cndmask_b32_e64 v12, -v23, v23, s1
	ds_bpermute_b32 v26, v2, v34
	s_wait_dscnt 0x5
	v_add_f32_e32 v97, v16, v24
	ds_bpermute_b32 v24, v2, v41
	v_cndmask_b32_e64 v16, -v35, v35, s1
	s_wait_dscnt 0x4
	v_add_f32_e32 v31, v7, v19
	v_cndmask_b32_e64 v7, -v38, v38, s1
	ds_bpermute_b32 v19, v2, v43
	s_wait_dscnt 0x4
	v_add_f32_e32 v35, v16, v27
	v_cndmask_b32_e64 v16, -v41, v41, s1
	s_wait_dscnt 0x3
	v_add_f32_e32 v38, v7, v21
	ds_bpermute_b32 v21, v2, v48
	v_cndmask_b32_e64 v7, -v43, v43, s1
	ds_bpermute_b32 v27, v2, v46
	ds_bpermute_b32 v41, v3, v29
	v_cndmask_b32_e64 v29, -v29, v29, s17
	s_wait_dscnt 0x4
	v_add_f32_e32 v102, v16, v24
	v_cndmask_b32_e64 v16, -v46, v46, s1
	ds_bpermute_b32 v46, v3, v31
	ds_bpermute_b32 v24, v2, v51
	s_wait_dscnt 0x5
	v_add_f32_e32 v43, v7, v19
	v_cndmask_b32_e64 v7, -v48, v48, s1
	ds_bpermute_b32 v19, v2, v53
	s_wait_dscnt 0x5
	v_add_f32_e32 v48, v7, v21
	v_cndmask_b32_e64 v7, -v53, v53, s1
	v_add_f32_e32 v10, v10, v93
	ds_bpermute_b32 v93, v2, v20
	ds_bpermute_b32 v20, v2, v23
	;; [unrolled: 1-line block ×4, first 2 shown]
	s_wait_dscnt 0x4
	v_add_f32_e32 v53, v7, v19
	ds_bpermute_b32 v19, v2, v63
	v_cndmask_b32_e64 v7, -v58, v58, s1
	s_wait_dscnt 0x4
	v_add_f32_e32 v93, v17, v93
	v_cndmask_b32_e64 v17, -v25, v25, s1
	ds_bpermute_b32 v25, v2, v30
	s_wait_dscnt 0x4
	v_add_f32_e32 v95, v12, v20
	v_cndmask_b32_e64 v12, -v28, v28, s1
	ds_bpermute_b32 v28, v2, v37
	v_add_f32_e32 v88, v17, v88
	v_cndmask_b32_e64 v17, -v30, v30, s1
	ds_bpermute_b32 v20, v2, v33
	v_add_f32_e32 v30, v11, v22
	v_cndmask_b32_e64 v11, -v33, v33, s1
	s_wait_dscnt 0x5
	v_add_f32_e32 v96, v12, v23
	ds_bpermute_b32 v23, v2, v40
	v_cndmask_b32_e64 v12, -v34, v34, s1
	ds_bpermute_b32 v22, v2, v39
	s_wait_dscnt 0x6
	v_add_f32_e32 v58, v7, v21
	v_cndmask_b32_e64 v7, -v63, v63, s1
	v_add_f32_e32 v34, v12, v26
	v_cndmask_b32_e64 v12, -v40, v40, s1
	ds_bpermute_b32 v26, v2, v45
	s_wait_dscnt 0x5
	v_dual_add_f32 v63, v7, v19 :: v_dual_add_f32 v98, v17, v25
	v_cndmask_b32_e64 v17, -v37, v37, s1
	ds_bpermute_b32 v25, v2, v42
	ds_bpermute_b32 v19, v3, v9
	s_wait_dscnt 0x6
	v_add_f32_e32 v99, v17, v28
	ds_bpermute_b32 v28, v2, v47
	v_cndmask_b32_e64 v17, -v42, v42, s1
	s_wait_dscnt 0x6
	v_add_f32_e32 v33, v11, v20
	s_wait_dscnt 0x5
	v_add_f32_e32 v101, v12, v23
	ds_bpermute_b32 v20, v2, v44
	v_cndmask_b32_e64 v11, -v39, v39, s1
	ds_bpermute_b32 v39, v3, v87
	v_cndmask_b32_e64 v12, -v45, v45, s1
	s_wait_dscnt 0x6
	v_add_f32_e32 v100, v11, v22
	ds_bpermute_b32 v22, v2, v49
	v_cndmask_b32_e64 v11, -v44, v44, s1
	s_wait_dscnt 0x6
	v_add_f32_e32 v105, v12, v26
	ds_bpermute_b32 v26, v2, v55
	s_wait_dscnt 0x6
	v_add_f32_e32 v103, v17, v25
	v_cndmask_b32_e64 v17, -v47, v47, s1
	ds_bpermute_b32 v25, v2, v52
	ds_bpermute_b32 v23, v2, v50
	v_cndmask_b32_e64 v12, -v50, v50, s1
	ds_bpermute_b32 v50, v3, v99
	s_wait_dscnt 0x7
	v_add_f32_e32 v107, v17, v28
	ds_bpermute_b32 v28, v2, v57
	v_cndmask_b32_e64 v17, -v52, v52, s1
	s_wait_dscnt 0x7
	v_add_f32_e32 v104, v11, v20
	ds_bpermute_b32 v20, v2, v54
	v_cndmask_b32_e64 v11, -v49, v49, s1
	ds_bpermute_b32 v44, v3, v97
	ds_bpermute_b32 v49, v3, v35
	;; [unrolled: 1-line block ×3, first 2 shown]
	s_wait_dscnt 0x9
	v_add_f32_e32 v108, v11, v22
	ds_bpermute_b32 v22, v2, v59
	v_cndmask_b32_e64 v11, -v54, v54, s1
	ds_bpermute_b32 v54, v3, v43
	s_wait_dscnt 0x9
	v_add_f32_e32 v111, v17, v25
	v_cndmask_b32_e64 v17, -v57, v57, s1
	ds_bpermute_b32 v25, v2, v62
	s_wait_dscnt 0x9
	v_add_f32_e32 v109, v12, v23
	ds_bpermute_b32 v23, v2, v60
	v_cndmask_b32_e64 v12, -v55, v55, s1
	s_wait_dscnt 0x8
	v_add_f32_e32 v115, v17, v28
	ds_bpermute_b32 v28, v2, v70
	v_cndmask_b32_e64 v17, -v62, v62, s1
	s_wait_dscnt 0x8
	v_add_f32_e32 v112, v11, v20
	ds_bpermute_b32 v20, v2, v64
	v_add_f32_e32 v113, v12, v26
	v_cndmask_b32_e64 v11, -v59, v59, s1
	ds_bpermute_b32 v26, v2, v66
	v_cndmask_b32_e64 v12, -v60, v60, s1
	ds_bpermute_b32 v21, v3, v0
	ds_bpermute_b32 v55, v3, v107
	s_wait_dscnt 0x8
	v_add_f32_e32 v116, v11, v22
	ds_bpermute_b32 v22, v3, v4
	v_cndmask_b32_e64 v11, -v64, v64, s1
	v_cndmask_b32_e64 v0, -v0, v0, s17
	;; [unrolled: 1-line block ×3, first 2 shown]
	s_wait_dscnt 0x7
	v_add_f32_e32 v119, v17, v25
	v_cndmask_b32_e64 v17, -v70, v70, s1
	s_wait_dscnt 0x6
	v_add_f32_e32 v117, v12, v23
	ds_bpermute_b32 v23, v3, v5
	v_cndmask_b32_e64 v12, -v66, v66, s1
	ds_bpermute_b32 v25, v3, v84
	s_wait_dscnt 0x7
	v_add_f32_e32 v120, v17, v28
	ds_bpermute_b32 v28, v3, v93
	v_add_f32_e32 v106, v16, v27
	ds_bpermute_b32 v27, v2, v56
	v_cndmask_b32_e64 v16, -v51, v51, s1
	s_wait_dscnt 0x8
	v_add_f32_e32 v66, v11, v20
	ds_bpermute_b32 v17, v3, v8
	ds_bpermute_b32 v20, v3, v10
	v_cndmask_b32_e64 v11, -v5, v5, s17
	v_add_f32_e32 v110, v16, v24
	v_cndmask_b32_e64 v16, -v56, v56, s1
	ds_bpermute_b32 v24, v2, v61
	s_wait_dscnt 0x7
	v_add_f32_e32 v5, v7, v22
	ds_bpermute_b32 v64, v3, v113
	v_add_f32_e32 v4, v0, v21
	v_cndmask_b32_e64 v0, -v89, v89, s17
	v_cndmask_b32_e64 v21, -v84, v84, s17
	ds_bpermute_b32 v22, v3, v85
	ds_bpermute_b32 v40, v3, v88
	;; [unrolled: 1-line block ×4, first 2 shown]
	s_wait_dscnt 0x8
	v_add_f32_e32 v114, v16, v27
	ds_bpermute_b32 v27, v2, v68
	v_cndmask_b32_e64 v16, -v61, v61, s1
	ds_bpermute_b32 v2, v2, v1
	ds_bpermute_b32 v61, v3, v53
	v_cndmask_b32_e64 v1, -v1, v1, s1
	s_wait_dscnt 0x8
	v_add_f32_e32 v118, v16, v24
	v_cndmask_b32_e64 v16, -v68, v68, s1
	ds_bpermute_b32 v24, v3, v6
	v_add_f32_e32 v68, v12, v26
	v_cndmask_b32_e64 v12, -v6, v6, s17
	ds_bpermute_b32 v26, v3, v14
	s_mul_u64 s[0:1], s[26:27], s[28:29]
	s_wait_alu 0xfffe
	s_lshl_b64 s[0:1], s[0:1], 2
	s_wait_alu 0xfffe
	s_add_nc_u64 s[0:1], s[22:23], s[0:1]
	s_wait_dscnt 0x4
	v_add_f32_e32 v70, v16, v27
	ds_bpermute_b32 v16, v3, v89
	ds_bpermute_b32 v27, v3, v15
	s_wait_dscnt 0x5
	v_add_f32_e32 v1, v1, v2
	v_cndmask_b32_e64 v2, -v8, v8, s17
	s_wait_dscnt 0x3
	v_add_f32_e32 v7, v12, v24
	ds_bpermute_b32 v24, v3, v13
	v_cndmask_b32_e64 v12, -v10, v10, s17
	s_wait_dscnt 0x2
	v_add_f32_e32 v8, v0, v16
	v_cndmask_b32_e64 v0, -v85, v85, s17
	ds_bpermute_b32 v85, v3, v115
	v_add_f32_e32 v6, v11, v23
	v_cndmask_b32_e64 v11, -v9, v9, s17
	ds_bpermute_b32 v23, v3, v86
	v_add_f32_e32 v9, v2, v17
	ds_bpermute_b32 v37, v3, v18
	v_cndmask_b32_e64 v16, -v13, v13, s17
	v_dual_add_f32 v10, v11, v19 :: v_dual_add_f32 v11, v12, v20
	v_add_f32_e32 v12, v21, v25
	ds_bpermute_b32 v20, v3, v90
	ds_bpermute_b32 v25, v3, v92
	v_cndmask_b32_e64 v17, -v14, v14, s17
	v_cndmask_b32_e64 v19, -v15, v15, s17
	ds_bpermute_b32 v21, v3, v91
	s_wait_dscnt 0x6
	v_add_f32_e32 v15, v16, v24
	v_cndmask_b32_e64 v2, -v86, v86, s17
	v_dual_add_f32 v16, v17, v26 :: v_dual_add_f32 v17, v19, v27
	ds_bpermute_b32 v26, v3, v94
	ds_bpermute_b32 v27, v3, v95
	v_add_f32_e32 v13, v0, v22
	v_cndmask_b32_e64 v0, -v90, v90, s17
	v_cndmask_b32_e64 v22, -v92, v92, s17
	;; [unrolled: 1-line block ×3, first 2 shown]
	s_wait_dscnt 0x6
	v_add_f32_e32 v14, v2, v23
	v_cndmask_b32_e64 v2, -v91, v91, s17
	ds_bpermute_b32 v45, v3, v98
	v_cndmask_b32_e64 v23, -v93, v93, s17
	ds_bpermute_b32 v47, v3, v34
	s_wait_dscnt 0x6
	v_add_f32_e32 v18, v0, v20
	s_wait_dscnt 0x5
	v_add_f32_e32 v20, v22, v25
	v_add_f32_e32 v22, v24, v37
	ds_bpermute_b32 v37, v3, v30
	s_wait_dscnt 0x5
	v_add_f32_e32 v19, v2, v21
	v_cndmask_b32_e64 v0, -v94, v94, s17
	v_cndmask_b32_e64 v2, -v95, v95, s17
	ds_bpermute_b32 v42, v3, v96
	v_add_f32_e32 v21, v23, v28
	v_cndmask_b32_e64 v25, -v87, v87, s17
	v_cndmask_b32_e64 v28, -v88, v88, s17
	s_wait_dscnt 0x4
	v_dual_add_f32 v23, v0, v26 :: v_dual_add_f32 v24, v2, v27
	v_add_f32_e32 v27, v29, v41
	ds_bpermute_b32 v41, v3, v33
	ds_bpermute_b32 v51, v3, v38
	v_dual_add_f32 v25, v25, v39 :: v_dual_add_f32 v26, v28, v40
	v_cndmask_b32_e64 v0, -v30, v30, s17
	v_cndmask_b32_e64 v30, -v97, v97, s17
	;; [unrolled: 1-line block ×5, first 2 shown]
	s_wait_dscnt 0x3
	v_add_f32_e32 v28, v0, v37
	v_dual_add_f32 v30, v30, v44 :: v_dual_add_f32 v31, v39, v45
	v_add_f32_e32 v37, v40, v46
	ds_bpermute_b32 v44, v3, v100
	ds_bpermute_b32 v45, v3, v101
	;; [unrolled: 1-line block ×3, first 2 shown]
	s_wait_dscnt 0x5
	v_add_f32_e32 v29, v2, v42
	v_cndmask_b32_e64 v0, -v33, v33, s17
	v_cndmask_b32_e64 v2, -v34, v34, s17
	;; [unrolled: 1-line block ×5, first 2 shown]
	s_wait_dscnt 0x4
	v_dual_add_f32 v38, v0, v41 :: v_dual_add_f32 v39, v2, v47
	s_delay_alu instid0(VALU_DEP_3)
	v_dual_add_f32 v40, v33, v49 :: v_dual_add_f32 v41, v34, v50
	s_wait_dscnt 0x3
	v_add_f32_e32 v42, v35, v51
	v_cndmask_b32_e64 v35, -v43, v43, s17
	ds_bpermute_b32 v49, v3, v104
	ds_bpermute_b32 v50, v3, v105
	;; [unrolled: 1-line block ×3, first 2 shown]
	v_cndmask_b32_e64 v0, -v100, v100, s17
	v_cndmask_b32_e64 v2, -v101, v101, s17
	;; [unrolled: 1-line block ×3, first 2 shown]
	ds_bpermute_b32 v56, v3, v48
	v_add_f32_e32 v47, v35, v54
	ds_bpermute_b32 v54, v3, v108
	ds_bpermute_b32 v59, v3, v110
	v_cndmask_b32_e64 v34, -v103, v103, s17
	s_wait_dscnt 0x7
	v_dual_add_f32 v43, v0, v44 :: v_dual_add_f32 v44, v2, v45
	s_wait_dscnt 0x6
	v_add_f32_e32 v45, v33, v46
	ds_bpermute_b32 v62, v3, v112
	ds_bpermute_b32 v84, v3, v114
	v_add_f32_e32 v46, v34, v52
	v_cndmask_b32_e64 v0, -v104, v104, s17
	v_cndmask_b32_e64 v2, -v105, v105, s17
	;; [unrolled: 1-line block ×5, first 2 shown]
	s_wait_dscnt 0x6
	v_dual_add_f32 v48, v0, v49 :: v_dual_add_f32 v49, v2, v50
	s_wait_dscnt 0x5
	v_add_f32_e32 v50, v33, v51
	v_add_f32_e32 v51, v34, v55
	v_cndmask_b32_e64 v0, -v108, v108, s17
	v_cndmask_b32_e64 v2, -v109, v109, s17
	;; [unrolled: 1-line block ×4, first 2 shown]
	ds_bpermute_b32 v86, v3, v58
	s_wait_dscnt 0x5
	v_add_f32_e32 v52, v35, v56
	v_cndmask_b32_e64 v35, -v53, v53, s17
	s_wait_dscnt 0x4
	v_dual_add_f32 v53, v0, v54 :: v_dual_add_f32 v54, v2, v57
	s_wait_dscnt 0x3
	v_dual_add_f32 v55, v33, v59 :: v_dual_add_f32 v56, v34, v60
	v_cndmask_b32_e64 v0, -v112, v112, s17
	v_cndmask_b32_e64 v2, -v113, v113, s17
	;; [unrolled: 1-line block ×4, first 2 shown]
	ds_bpermute_b32 v87, v3, v116
	v_add_f32_e32 v57, v35, v61
	v_cndmask_b32_e64 v35, -v58, v58, s17
	ds_bpermute_b32 v88, v3, v117
	ds_bpermute_b32 v89, v3, v118
	;; [unrolled: 1-line block ×4, first 2 shown]
	s_wait_dscnt 0x7
	v_dual_add_f32 v58, v0, v62 :: v_dual_add_f32 v59, v2, v64
	s_wait_dscnt 0x6
	v_dual_add_f32 v60, v33, v84 :: v_dual_add_f32 v61, v34, v85
	ds_bpermute_b32 v0, v3, v66
	ds_bpermute_b32 v2, v3, v68
	;; [unrolled: 1-line block ×5, first 2 shown]
	s_wait_dscnt 0xa
	v_add_f32_e32 v62, v35, v86
	v_cndmask_b32_e64 v35, -v116, v116, s17
	v_cndmask_b32_e64 v64, -v117, v117, s17
	;; [unrolled: 1-line block ×5, first 2 shown]
	s_wait_dscnt 0x9
	v_add_f32_e32 v63, v35, v87
	v_cndmask_b32_e64 v35, -v66, v66, s17
	v_cndmask_b32_e64 v66, -v68, v68, s17
	;; [unrolled: 1-line block ×4, first 2 shown]
	s_wait_dscnt 0x8
	v_add_f32_e32 v64, v64, v88
	s_wait_dscnt 0x6
	v_dual_add_f32 v84, v84, v89 :: v_dual_add_f32 v85, v85, v90
	s_wait_dscnt 0x4
	v_dual_add_f32 v86, v86, v91 :: v_dual_add_f32 v87, v35, v0
	;; [unrolled: 2-line block ×3, first 2 shown]
	v_cndmask_b32_e64 v70, -v120, v120, s17
	s_wait_dscnt 0x0
	v_add_f32_e32 v91, v1, v3
	ds_store_b128 v32, v[4:7]
	ds_store_b128 v32, v[8:11] offset:4096
	ds_store_b128 v32, v[12:15] offset:8192
	;; [unrolled: 1-line block ×7, first 2 shown]
	s_wait_loadcnt_dscnt 0x0
	s_barrier_signal -1
	s_barrier_wait -1
	global_inv scope:SCOPE_SE
	ds_load_b128 v[24:27], v36
	ds_load_b128 v[28:31], v36 offset:4096
	ds_load_b128 v[16:19], v36 offset:8192
	;; [unrolled: 1-line block ×7, first 2 shown]
	v_add_f32_e32 v90, v70, v34
	s_wait_loadcnt_dscnt 0x0
	s_barrier_signal -1
	s_barrier_wait -1
	global_inv scope:SCOPE_SE
	v_add_f32_e32 v105, v25, v29
	v_dual_add_f32 v107, v27, v31 :: v_dual_add_f32 v108, v16, v20
	v_add_f32_e32 v109, v17, v21
	v_add_f32_e32 v113, v9, v13
	;; [unrolled: 1-line block ×4, first 2 shown]
	v_dual_add_f32 v119, v3, v7 :: v_dual_add_f32 v110, v18, v22
	v_dual_add_f32 v111, v19, v23 :: v_dual_add_f32 v112, v8, v12
	s_delay_alu instid0(VALU_DEP_3) | instskip(NEXT) | instid1(VALU_DEP_3)
	v_add_f32_e32 v93, v113, v117
	v_add_f32_e32 v95, v115, v119
	ds_store_b128 v32, v[41:44]
	ds_store_b128 v32, v[45:48] offset:4096
	ds_store_b128 v32, v[49:52] offset:8192
	;; [unrolled: 1-line block ×7, first 2 shown]
	s_wait_loadcnt_dscnt 0x0
	s_barrier_signal -1
	s_barrier_wait -1
	global_inv scope:SCOPE_SE
	ds_load_b128 v[56:59], v36
	ds_load_b128 v[60:63], v36 offset:4096
	ds_load_b128 v[48:51], v36 offset:8192
	;; [unrolled: 1-line block ×7, first 2 shown]
	v_add_f32_e32 v114, v10, v14
	v_add_f32_e32 v116, v0, v4
	v_dual_add_f32 v118, v2, v6 :: v_dual_add_f32 v89, v105, v109
	s_delay_alu instid0(VALU_DEP_2) | instskip(NEXT) | instid1(VALU_DEP_2)
	v_dual_add_f32 v91, v107, v111 :: v_dual_add_f32 v92, v112, v116
	v_add_f32_e32 v94, v114, v118
	s_delay_alu instid0(VALU_DEP_3) | instskip(SKIP_1) | instid1(VALU_DEP_3)
	v_add_f32_e32 v66, v89, v93
	s_wait_dscnt 0x6
	v_dual_add_f32 v70, v91, v95 :: v_dual_add_f32 v121, v57, v61
	v_add_f32_e32 v123, v59, v63
	s_wait_dscnt 0x4
	v_add_f32_e32 v125, v49, v53
	v_add_f32_e32 v127, v51, v55
	s_wait_dscnt 0x2
	v_add_f32_e32 v129, v41, v45
	;; [unrolled: 3-line block ×3, first 2 shown]
	v_dual_add_f32 v135, v35, v39 :: v_dual_add_f32 v120, v56, v60
	v_add_f32_e32 v122, v58, v62
	v_add_f32_e32 v124, v48, v52
	;; [unrolled: 1-line block ×6, first 2 shown]
	v_dual_add_f32 v134, v34, v38 :: v_dual_add_f32 v97, v121, v125
	v_add_f32_e32 v99, v123, v127
	v_dual_add_f32 v101, v129, v133 :: v_dual_add_f32 v104, v24, v28
	v_dual_add_f32 v103, v131, v135 :: v_dual_add_f32 v106, v26, v30
	v_add_f32_e32 v96, v120, v124
	v_add_f32_e32 v98, v122, v126
	;; [unrolled: 1-line block ×3, first 2 shown]
	v_dual_add_f32 v102, v130, v134 :: v_dual_add_f32 v85, v97, v101
	v_dual_add_f32 v88, v104, v108 :: v_dual_add_f32 v87, v99, v103
	v_add_f32_e32 v90, v106, v110
	s_delay_alu instid0(VALU_DEP_4) | instskip(NEXT) | instid1(VALU_DEP_4)
	v_add_f32_e32 v84, v96, v100
	v_add_f32_e32 v86, v98, v102
	s_delay_alu instid0(VALU_DEP_4) | instskip(NEXT) | instid1(VALU_DEP_4)
	v_add_f32_e32 v64, v88, v92
	v_add_f32_e32 v68, v90, v94
	s_and_saveexec_b32 s17, s12
	s_cbranch_execz .LBB11_34
; %bb.33:
	s_delay_alu instid0(VALU_DEP_1) | instskip(SKIP_2) | instid1(VALU_DEP_2)
	v_dual_add_f32 v136, v87, v70 :: v_dual_add_f32 v137, v86, v68
	v_dual_add_f32 v140, v85, v66 :: v_dual_add_f32 v141, v84, v64
	s_wait_kmcnt 0x0
	v_dual_mul_f32 v139, s20, v136 :: v_dual_mul_f32 v138, s20, v137
	s_delay_alu instid0(VALU_DEP_2)
	v_dual_mul_f32 v137, s20, v140 :: v_dual_mul_f32 v136, s20, v141
	global_store_b128 v82, v[136:139], s[0:1]
.LBB11_34:
	s_wait_alu 0xfffe
	s_or_b32 exec_lo, exec_lo, s17
	v_dual_sub_f32 v28, v24, v28 :: v_dual_sub_f32 v29, v25, v29
	v_dual_sub_f32 v30, v26, v30 :: v_dual_sub_f32 v31, v27, v31
	;; [unrolled: 1-line block ×16, first 2 shown]
	v_dual_add_f32 v16, v28, v136 :: v_dual_add_f32 v17, v29, v137
	v_dual_add_f32 v18, v30, v138 :: v_dual_add_f32 v19, v31, v139
	;; [unrolled: 1-line block ×10, first 2 shown]
	s_delay_alu instid0(VALU_DEP_4) | instskip(NEXT) | instid1(VALU_DEP_4)
	v_dual_add_f32 v4, v24, v32 :: v_dual_add_f32 v5, v25, v33
	v_dual_add_f32 v6, v26, v34 :: v_dual_add_f32 v7, v27, v35
	s_and_saveexec_b32 s12, s8
	s_cbranch_execz .LBB11_36
; %bb.35:
	s_delay_alu instid0(VALU_DEP_2) | instskip(NEXT) | instid1(VALU_DEP_2)
	v_dual_add_f32 v8, v4, v0 :: v_dual_add_f32 v9, v5, v1
	v_dual_add_f32 v10, v6, v2 :: v_dual_add_f32 v11, v7, v3
	s_wait_kmcnt 0x0
	s_delay_alu instid0(VALU_DEP_2) | instskip(NEXT) | instid1(VALU_DEP_2)
	v_dual_mul_f32 v8, s20, v8 :: v_dual_mul_f32 v9, s20, v9
	v_dual_mul_f32 v10, s20, v10 :: v_dual_mul_f32 v11, s20, v11
	global_store_b128 v78, v[8:11], s[0:1]
.LBB11_36:
	s_or_b32 exec_lo, exec_lo, s12
	v_dual_sub_f32 v56, v104, v108 :: v_dual_sub_f32 v57, v105, v109
	v_dual_sub_f32 v58, v106, v110 :: v_dual_sub_f32 v59, v107, v111
	v_dual_sub_f32 v60, v112, v116 :: v_dual_sub_f32 v61, v113, v117
	v_dual_sub_f32 v62, v114, v118 :: v_dual_sub_f32 v63, v115, v119
	v_dual_sub_f32 v78, v120, v124 :: v_dual_sub_f32 v105, v123, v127
	v_dual_sub_f32 v82, v121, v125 :: v_dual_sub_f32 v109, v131, v135
	v_dual_sub_f32 v104, v122, v126 :: v_dual_sub_f32 v107, v129, v133
	v_dual_sub_f32 v106, v128, v132 :: v_dual_add_f32 v9, v57, v61
	v_dual_sub_f32 v108, v130, v134 :: v_dual_add_f32 v11, v59, v63
	s_delay_alu instid0(VALU_DEP_3) | instskip(SKIP_1) | instid1(VALU_DEP_4)
	v_dual_add_f32 v8, v56, v60 :: v_dual_add_f32 v13, v82, v107
	v_dual_add_f32 v10, v58, v62 :: v_dual_add_f32 v15, v105, v109
	v_add_f32_e32 v12, v78, v106
	s_delay_alu instid0(VALU_DEP_4)
	v_add_f32_e32 v14, v104, v108
	s_and_saveexec_b32 s8, s6
	s_cbranch_execz .LBB11_38
; %bb.37:
	s_delay_alu instid0(VALU_DEP_2) | instskip(NEXT) | instid1(VALU_DEP_2)
	v_dual_add_f32 v44, v12, v8 :: v_dual_add_f32 v45, v13, v9
	v_dual_add_f32 v46, v14, v10 :: v_dual_add_f32 v47, v15, v11
	s_wait_kmcnt 0x0
	s_delay_alu instid0(VALU_DEP_2) | instskip(NEXT) | instid1(VALU_DEP_2)
	v_dual_mul_f32 v44, s20, v44 :: v_dual_mul_f32 v45, s20, v45
	v_dual_mul_f32 v46, s20, v46 :: v_dual_mul_f32 v47, s20, v47
	global_store_b128 v76, v[44:47], s[0:1]
.LBB11_38:
	s_or_b32 exec_lo, exec_lo, s8
	v_dual_sub_f32 v76, v28, v136 :: v_dual_sub_f32 v111, v30, v138
	v_dual_sub_f32 v110, v29, v137 :: v_dual_sub_f32 v113, v140, v144
	;; [unrolled: 1-line block ×7, first 2 shown]
	s_delay_alu instid0(VALU_DEP_4) | instskip(NEXT) | instid1(VALU_DEP_4)
	v_dual_sub_f32 v122, v41, v37 :: v_dual_add_f32 v29, v110, v114
	v_dual_sub_f32 v124, v43, v39 :: v_dual_add_f32 v31, v112, v116
	s_delay_alu instid0(VALU_DEP_2) | instskip(NEXT) | instid1(VALU_DEP_2)
	v_dual_add_f32 v28, v76, v113 :: v_dual_add_f32 v37, v118, v122
	v_dual_add_f32 v30, v111, v115 :: v_dual_add_f32 v39, v120, v124
	v_add_f32_e32 v36, v117, v121
	v_add_f32_e32 v38, v119, v123
	s_and_saveexec_b32 s6, vcc_lo
	s_cbranch_execz .LBB11_40
; %bb.39:
	s_delay_alu instid0(VALU_DEP_2) | instskip(NEXT) | instid1(VALU_DEP_2)
	v_dual_add_f32 v40, v36, v28 :: v_dual_add_f32 v41, v37, v29
	v_dual_add_f32 v42, v38, v30 :: v_dual_add_f32 v43, v39, v31
	s_wait_kmcnt 0x0
	s_delay_alu instid0(VALU_DEP_2) | instskip(NEXT) | instid1(VALU_DEP_2)
	v_dual_mul_f32 v40, s20, v40 :: v_dual_mul_f32 v41, s20, v41
	v_dual_mul_f32 v42, s20, v42 :: v_dual_mul_f32 v43, s20, v43
	global_store_b128 v71, v[40:43], s[0:1]
.LBB11_40:
	s_or_b32 exec_lo, exec_lo, s6
	v_dual_sub_f32 v44, v88, v92 :: v_dual_sub_f32 v45, v89, v93
	v_dual_sub_f32 v46, v90, v94 :: v_dual_sub_f32 v47, v91, v95
	v_dual_sub_f32 v52, v96, v100 :: v_dual_sub_f32 v53, v97, v101
	v_dual_sub_f32 v54, v98, v102 :: v_dual_sub_f32 v55, v99, v103
	s_and_saveexec_b32 s6, s2
	s_cbranch_execz .LBB11_42
; %bb.41:
	s_delay_alu instid0(VALU_DEP_2) | instskip(NEXT) | instid1(VALU_DEP_2)
	v_dual_add_f32 v40, v44, v52 :: v_dual_add_f32 v41, v45, v53
	v_dual_add_f32 v42, v46, v54 :: v_dual_add_f32 v43, v47, v55
	s_wait_kmcnt 0x0
	s_delay_alu instid0(VALU_DEP_2) | instskip(NEXT) | instid1(VALU_DEP_2)
	v_dual_mul_f32 v40, s20, v40 :: v_dual_mul_f32 v41, s20, v41
	v_dual_mul_f32 v42, s20, v42 :: v_dual_mul_f32 v43, s20, v43
	global_store_b128 v72, v[40:43], s[0:1]
.LBB11_42:
	s_or_b32 exec_lo, exec_lo, s6
	v_dual_sub_f32 v40, v16, v20 :: v_dual_sub_f32 v41, v17, v21
	v_dual_sub_f32 v42, v18, v22 :: v_dual_sub_f32 v43, v19, v23
	v_dual_sub_f32 v48, v24, v32 :: v_dual_sub_f32 v49, v25, v33
	v_dual_sub_f32 v50, v26, v34 :: v_dual_sub_f32 v51, v27, v35
	s_and_saveexec_b32 s2, s3
	;; [unrolled: 17-line block ×3, first 2 shown]
	s_cbranch_execz .LBB11_46
; %bb.45:
	s_delay_alu instid0(VALU_DEP_1) | instskip(NEXT) | instid1(VALU_DEP_2)
	v_dual_add_f32 v16, v24, v32 :: v_dual_add_f32 v17, v25, v33
	v_dual_add_f32 v18, v26, v34 :: v_dual_add_f32 v19, v27, v35
	s_wait_kmcnt 0x0
	s_delay_alu instid0(VALU_DEP_2) | instskip(NEXT) | instid1(VALU_DEP_2)
	v_dual_mul_f32 v16, s20, v16 :: v_dual_mul_f32 v17, s20, v17
	v_dual_mul_f32 v18, s20, v18 :: v_dual_mul_f32 v19, s20, v19
	global_store_b128 v74, v[16:19], s[0:1]
.LBB11_46:
	s_or_b32 exec_lo, exec_lo, s2
	v_dual_sub_f32 v16, v76, v113 :: v_dual_sub_f32 v17, v110, v114
	v_dual_sub_f32 v18, v111, v115 :: v_dual_sub_f32 v19, v112, v116
	v_dual_sub_f32 v20, v117, v121 :: v_dual_sub_f32 v21, v118, v122
	v_dual_sub_f32 v22, v119, v123 :: v_dual_sub_f32 v23, v120, v124
	s_and_saveexec_b32 s2, s5
	s_cbranch_execnz .LBB11_56
; %bb.47:
	s_or_b32 exec_lo, exec_lo, s2
	s_and_saveexec_b32 s2, s7
	s_cbranch_execnz .LBB11_57
.LBB11_48:
	s_or_b32 exec_lo, exec_lo, s2
	s_and_saveexec_b32 s2, s9
	s_cbranch_execnz .LBB11_58
.LBB11_49:
	s_or_b32 exec_lo, exec_lo, s2
	s_and_saveexec_b32 s2, s10
	s_cbranch_execnz .LBB11_59
.LBB11_50:
	s_or_b32 exec_lo, exec_lo, s2
	s_and_saveexec_b32 s2, s11
	s_cbranch_execnz .LBB11_60
.LBB11_51:
	s_or_b32 exec_lo, exec_lo, s2
	s_and_saveexec_b32 s2, s13
	s_cbranch_execnz .LBB11_61
.LBB11_52:
	s_or_b32 exec_lo, exec_lo, s2
	s_and_saveexec_b32 s2, s14
	s_cbranch_execnz .LBB11_62
.LBB11_53:
	s_or_b32 exec_lo, exec_lo, s2
	s_and_saveexec_b32 s2, s15
	s_cbranch_execnz .LBB11_63
.LBB11_54:
	s_or_b32 exec_lo, exec_lo, s2
	s_and_saveexec_b32 s2, s16
	s_cbranch_execnz .LBB11_64
.LBB11_55:
	s_nop 0
	s_sendmsg sendmsg(MSG_DEALLOC_VGPRS)
	s_endpgm
.LBB11_56:
	s_delay_alu instid0(VALU_DEP_2) | instskip(NEXT) | instid1(VALU_DEP_2)
	v_dual_add_f32 v56, v16, v20 :: v_dual_add_f32 v57, v17, v21
	v_dual_add_f32 v58, v18, v22 :: v_dual_add_f32 v59, v19, v23
	s_wait_kmcnt 0x0
	s_delay_alu instid0(VALU_DEP_2) | instskip(NEXT) | instid1(VALU_DEP_2)
	v_dual_mul_f32 v56, s20, v56 :: v_dual_mul_f32 v57, s20, v57
	v_dual_mul_f32 v58, s20, v58 :: v_dual_mul_f32 v59, s20, v59
	global_store_b128 v75, v[56:59], s[0:1]
	s_or_b32 exec_lo, exec_lo, s2
	s_and_saveexec_b32 s2, s7
	s_cbranch_execz .LBB11_48
.LBB11_57:
	v_dual_sub_f32 v56, v64, v84 :: v_dual_sub_f32 v57, v66, v85
	v_dual_sub_f32 v58, v68, v86 :: v_dual_sub_f32 v59, v70, v87
	s_wait_kmcnt 0x0
	s_delay_alu instid0(VALU_DEP_2) | instskip(NEXT) | instid1(VALU_DEP_2)
	v_dual_mul_f32 v56, s20, v56 :: v_dual_mul_f32 v57, s20, v57
	v_dual_mul_f32 v58, s20, v58 :: v_dual_mul_f32 v59, s20, v59
	global_store_b128 v77, v[56:59], s[0:1]
	s_or_b32 exec_lo, exec_lo, s2
	s_and_saveexec_b32 s2, s9
	s_cbranch_execz .LBB11_49
.LBB11_58:
	v_dual_sub_f32 v0, v0, v4 :: v_dual_sub_f32 v1, v1, v5
	v_dual_sub_f32 v2, v2, v6 :: v_dual_sub_f32 v3, v3, v7
	s_wait_kmcnt 0x0
	s_delay_alu instid0(VALU_DEP_2) | instskip(NEXT) | instid1(VALU_DEP_2)
	v_dual_mul_f32 v0, s20, v0 :: v_dual_mul_f32 v1, s20, v1
	v_dual_mul_f32 v2, s20, v2 :: v_dual_mul_f32 v3, s20, v3
	global_store_b128 v79, v[0:3], s[0:1]
	s_or_b32 exec_lo, exec_lo, s2
	s_and_saveexec_b32 s2, s10
	s_cbranch_execz .LBB11_50
.LBB11_59:
	v_dual_sub_f32 v0, v8, v12 :: v_dual_sub_f32 v1, v9, v13
	v_dual_sub_f32 v2, v10, v14 :: v_dual_sub_f32 v3, v11, v15
	s_wait_kmcnt 0x0
	s_delay_alu instid0(VALU_DEP_2) | instskip(NEXT) | instid1(VALU_DEP_2)
	v_dual_mul_f32 v0, s20, v0 :: v_dual_mul_f32 v1, s20, v1
	v_dual_mul_f32 v2, s20, v2 :: v_dual_mul_f32 v3, s20, v3
	global_store_b128 v80, v[0:3], s[0:1]
	s_or_b32 exec_lo, exec_lo, s2
	s_and_saveexec_b32 s2, s11
	s_cbranch_execz .LBB11_51
.LBB11_60:
	v_dual_sub_f32 v0, v28, v36 :: v_dual_sub_f32 v1, v29, v37
	v_dual_sub_f32 v2, v30, v38 :: v_dual_sub_f32 v3, v31, v39
	s_wait_kmcnt 0x0
	s_delay_alu instid0(VALU_DEP_2) | instskip(NEXT) | instid1(VALU_DEP_2)
	v_dual_mul_f32 v0, s20, v0 :: v_dual_mul_f32 v1, s20, v1
	v_dual_mul_f32 v2, s20, v2 :: v_dual_mul_f32 v3, s20, v3
	global_store_b128 v81, v[0:3], s[0:1]
	s_or_b32 exec_lo, exec_lo, s2
	s_and_saveexec_b32 s2, s13
	s_cbranch_execz .LBB11_52
.LBB11_61:
	v_dual_sub_f32 v0, v44, v52 :: v_dual_sub_f32 v1, v45, v53
	v_dual_sub_f32 v2, v46, v54 :: v_dual_sub_f32 v3, v47, v55
	s_wait_kmcnt 0x0
	s_delay_alu instid0(VALU_DEP_2) | instskip(NEXT) | instid1(VALU_DEP_2)
	v_dual_mul_f32 v0, s20, v0 :: v_dual_mul_f32 v1, s20, v1
	v_dual_mul_f32 v2, s20, v2 :: v_dual_mul_f32 v3, s20, v3
	global_store_b128 v83, v[0:3], s[0:1]
	s_or_b32 exec_lo, exec_lo, s2
	s_and_saveexec_b32 s2, s14
	s_cbranch_execz .LBB11_53
.LBB11_62:
	v_dual_mov_b32 v68, 0 :: v_dual_sub_f32 v1, v41, v49
	v_dual_sub_f32 v0, v40, v48 :: v_dual_sub_f32 v3, v43, v51
	v_sub_f32_e32 v2, v42, v50
	s_delay_alu instid0(VALU_DEP_3) | instskip(SKIP_1) | instid1(VALU_DEP_3)
	v_lshlrev_b64_e32 v[4:5], 4, v[67:68]
	s_wait_kmcnt 0x0
	v_dual_mul_f32 v1, s20, v1 :: v_dual_mul_f32 v0, s20, v0
	s_delay_alu instid0(VALU_DEP_3) | instskip(NEXT) | instid1(VALU_DEP_3)
	v_dual_mul_f32 v3, s20, v3 :: v_dual_mul_f32 v2, s20, v2
	v_add_co_u32 v4, vcc_lo, s0, v4
	s_delay_alu instid0(VALU_DEP_1)
	v_add_co_ci_u32_e64 v5, null, s1, v5, vcc_lo
	global_store_b128 v[4:5], v[0:3], off
	s_or_b32 exec_lo, exec_lo, s2
	s_and_saveexec_b32 s2, s15
	s_cbranch_execz .LBB11_54
.LBB11_63:
	v_dual_mov_b32 v66, 0 :: v_dual_sub_f32 v1, v25, v33
	v_dual_sub_f32 v0, v24, v32 :: v_dual_sub_f32 v3, v27, v35
	v_sub_f32_e32 v2, v26, v34
	s_delay_alu instid0(VALU_DEP_3) | instskip(SKIP_1) | instid1(VALU_DEP_3)
	v_lshlrev_b64_e32 v[4:5], 4, v[65:66]
	s_wait_kmcnt 0x0
	v_dual_mul_f32 v1, s20, v1 :: v_dual_mul_f32 v0, s20, v0
	s_delay_alu instid0(VALU_DEP_3) | instskip(NEXT) | instid1(VALU_DEP_3)
	v_dual_mul_f32 v3, s20, v3 :: v_dual_mul_f32 v2, s20, v2
	v_add_co_u32 v4, vcc_lo, s0, v4
	s_wait_alu 0xfffd
	v_add_co_ci_u32_e64 v5, null, s1, v5, vcc_lo
	global_store_b128 v[4:5], v[0:3], off
	s_or_b32 exec_lo, exec_lo, s2
	s_and_saveexec_b32 s2, s16
	s_cbranch_execz .LBB11_55
.LBB11_64:
	v_dual_mov_b32 v70, 0 :: v_dual_sub_f32 v1, v17, v21
	v_dual_sub_f32 v0, v16, v20 :: v_dual_sub_f32 v3, v19, v23
	v_sub_f32_e32 v2, v18, v22
	s_delay_alu instid0(VALU_DEP_3) | instskip(SKIP_1) | instid1(VALU_DEP_3)
	v_lshlrev_b64_e32 v[4:5], 4, v[69:70]
	s_wait_kmcnt 0x0
	v_dual_mul_f32 v1, s20, v1 :: v_dual_mul_f32 v0, s20, v0
	s_delay_alu instid0(VALU_DEP_3) | instskip(NEXT) | instid1(VALU_DEP_3)
	v_dual_mul_f32 v3, s20, v3 :: v_dual_mul_f32 v2, s20, v2
	v_add_co_u32 v4, vcc_lo, s0, v4
	s_wait_alu 0xfffd
	v_add_co_ci_u32_e64 v5, null, s1, v5, vcc_lo
	global_store_b128 v[4:5], v[0:3], off
	s_nop 0
	s_sendmsg sendmsg(MSG_DEALLOC_VGPRS)
	s_endpgm
	.section	.rodata,"a",@progbits
	.p2align	6, 0x0
	.amdhsa_kernel _Z30fast_hadamard_transform_kernelI37fast_hadamard_transform_kernel_traitsILi256ELi14EfEEv18HadamardParamsBase
		.amdhsa_group_segment_fixed_size 0
		.amdhsa_private_segment_fixed_size 0
		.amdhsa_kernarg_size 312
		.amdhsa_user_sgpr_count 2
		.amdhsa_user_sgpr_dispatch_ptr 0
		.amdhsa_user_sgpr_queue_ptr 0
		.amdhsa_user_sgpr_kernarg_segment_ptr 1
		.amdhsa_user_sgpr_dispatch_id 0
		.amdhsa_user_sgpr_private_segment_size 0
		.amdhsa_wavefront_size32 1
		.amdhsa_uses_dynamic_stack 0
		.amdhsa_enable_private_segment 0
		.amdhsa_system_sgpr_workgroup_id_x 1
		.amdhsa_system_sgpr_workgroup_id_y 0
		.amdhsa_system_sgpr_workgroup_id_z 0
		.amdhsa_system_sgpr_workgroup_info 0
		.amdhsa_system_vgpr_workitem_id 0
		.amdhsa_next_free_vgpr 152
		.amdhsa_next_free_sgpr 30
		.amdhsa_reserve_vcc 1
		.amdhsa_float_round_mode_32 0
		.amdhsa_float_round_mode_16_64 0
		.amdhsa_float_denorm_mode_32 3
		.amdhsa_float_denorm_mode_16_64 3
		.amdhsa_fp16_overflow 0
		.amdhsa_workgroup_processor_mode 1
		.amdhsa_memory_ordered 1
		.amdhsa_forward_progress 1
		.amdhsa_inst_pref_size 128
		.amdhsa_round_robin_scheduling 0
		.amdhsa_exception_fp_ieee_invalid_op 0
		.amdhsa_exception_fp_denorm_src 0
		.amdhsa_exception_fp_ieee_div_zero 0
		.amdhsa_exception_fp_ieee_overflow 0
		.amdhsa_exception_fp_ieee_underflow 0
		.amdhsa_exception_fp_ieee_inexact 0
		.amdhsa_exception_int_div_zero 0
	.end_amdhsa_kernel
	.section	.text._Z30fast_hadamard_transform_kernelI37fast_hadamard_transform_kernel_traitsILi256ELi14EfEEv18HadamardParamsBase,"axG",@progbits,_Z30fast_hadamard_transform_kernelI37fast_hadamard_transform_kernel_traitsILi256ELi14EfEEv18HadamardParamsBase,comdat
.Lfunc_end11:
	.size	_Z30fast_hadamard_transform_kernelI37fast_hadamard_transform_kernel_traitsILi256ELi14EfEEv18HadamardParamsBase, .Lfunc_end11-_Z30fast_hadamard_transform_kernelI37fast_hadamard_transform_kernel_traitsILi256ELi14EfEEv18HadamardParamsBase
                                        ; -- End function
	.set _Z30fast_hadamard_transform_kernelI37fast_hadamard_transform_kernel_traitsILi256ELi14EfEEv18HadamardParamsBase.num_vgpr, 152
	.set _Z30fast_hadamard_transform_kernelI37fast_hadamard_transform_kernel_traitsILi256ELi14EfEEv18HadamardParamsBase.num_agpr, 0
	.set _Z30fast_hadamard_transform_kernelI37fast_hadamard_transform_kernel_traitsILi256ELi14EfEEv18HadamardParamsBase.numbered_sgpr, 30
	.set _Z30fast_hadamard_transform_kernelI37fast_hadamard_transform_kernel_traitsILi256ELi14EfEEv18HadamardParamsBase.num_named_barrier, 0
	.set _Z30fast_hadamard_transform_kernelI37fast_hadamard_transform_kernel_traitsILi256ELi14EfEEv18HadamardParamsBase.private_seg_size, 0
	.set _Z30fast_hadamard_transform_kernelI37fast_hadamard_transform_kernel_traitsILi256ELi14EfEEv18HadamardParamsBase.uses_vcc, 1
	.set _Z30fast_hadamard_transform_kernelI37fast_hadamard_transform_kernel_traitsILi256ELi14EfEEv18HadamardParamsBase.uses_flat_scratch, 0
	.set _Z30fast_hadamard_transform_kernelI37fast_hadamard_transform_kernel_traitsILi256ELi14EfEEv18HadamardParamsBase.has_dyn_sized_stack, 0
	.set _Z30fast_hadamard_transform_kernelI37fast_hadamard_transform_kernel_traitsILi256ELi14EfEEv18HadamardParamsBase.has_recursion, 0
	.set _Z30fast_hadamard_transform_kernelI37fast_hadamard_transform_kernel_traitsILi256ELi14EfEEv18HadamardParamsBase.has_indirect_call, 0
	.section	.AMDGPU.csdata,"",@progbits
; Kernel info:
; codeLenInByte = 16328
; TotalNumSgprs: 32
; NumVgprs: 152
; ScratchSize: 0
; MemoryBound: 0
; FloatMode: 240
; IeeeMode: 1
; LDSByteSize: 0 bytes/workgroup (compile time only)
; SGPRBlocks: 0
; VGPRBlocks: 18
; NumSGPRsForWavesPerEU: 32
; NumVGPRsForWavesPerEU: 152
; Occupancy: 9
; WaveLimiterHint : 0
; COMPUTE_PGM_RSRC2:SCRATCH_EN: 0
; COMPUTE_PGM_RSRC2:USER_SGPR: 2
; COMPUTE_PGM_RSRC2:TRAP_HANDLER: 0
; COMPUTE_PGM_RSRC2:TGID_X_EN: 1
; COMPUTE_PGM_RSRC2:TGID_Y_EN: 0
; COMPUTE_PGM_RSRC2:TGID_Z_EN: 0
; COMPUTE_PGM_RSRC2:TIDIG_COMP_CNT: 0
	.section	.text._Z30fast_hadamard_transform_kernelI37fast_hadamard_transform_kernel_traitsILi256ELi15EfEEv18HadamardParamsBase,"axG",@progbits,_Z30fast_hadamard_transform_kernelI37fast_hadamard_transform_kernel_traitsILi256ELi15EfEEv18HadamardParamsBase,comdat
	.protected	_Z30fast_hadamard_transform_kernelI37fast_hadamard_transform_kernel_traitsILi256ELi15EfEEv18HadamardParamsBase ; -- Begin function _Z30fast_hadamard_transform_kernelI37fast_hadamard_transform_kernel_traitsILi256ELi15EfEEv18HadamardParamsBase
	.globl	_Z30fast_hadamard_transform_kernelI37fast_hadamard_transform_kernel_traitsILi256ELi15EfEEv18HadamardParamsBase
	.p2align	8
	.type	_Z30fast_hadamard_transform_kernelI37fast_hadamard_transform_kernel_traitsILi256ELi15EfEEv18HadamardParamsBase,@function
_Z30fast_hadamard_transform_kernelI37fast_hadamard_transform_kernel_traitsILi256ELi15EfEEv18HadamardParamsBase: ; @_Z30fast_hadamard_transform_kernelI37fast_hadamard_transform_kernel_traitsILi256ELi15EfEEv18HadamardParamsBase
; %bb.0:
	s_clause 0x3
	s_load_b128 s[44:47], s[0:1], 0x10
	s_load_b32 s36, s[0:1], 0x4
	s_load_b128 s[40:43], s[0:1], 0x28
	s_load_b32 s2, s[0:1], 0x44
	v_dual_mov_b32 v128, 0 :: v_dual_lshlrev_b32 v1, 2, v0
	s_mov_b32 s48, ttmp9
	s_ashr_i32 s49, ttmp9, 31
	v_dual_mov_b32 v121, 0 :: v_dual_mov_b32 v126, 0
	v_dual_mov_b32 v125, 0 :: v_dual_lshlrev_b32 v144, 4, v0
	v_mov_b32_e32 v127, 0
	s_wait_kmcnt 0x0
	s_mul_u64 s[4:5], s[44:45], s[48:49]
	v_cmp_gt_u32_e64 s33, s36, v1
	s_lshl_b64 s[4:5], s[4:5], 2
	s_delay_alu instid0(SALU_CYCLE_1)
	s_add_nc_u64 s[34:35], s[40:41], s[4:5]
	s_and_saveexec_b32 s3, s33
	s_cbranch_execz .LBB12_2
; %bb.1:
	global_load_b128 v[125:128], v144, s[34:35]
.LBB12_2:
	s_or_b32 exec_lo, exec_lo, s3
	s_and_b32 s37, 0xffff, s2
	s_wait_alu 0xfffe
	v_dual_mov_b32 v122, 0 :: v_dual_add_nc_u32 v1, s37, v0
	v_dual_mov_b32 v123, 0 :: v_dual_mov_b32 v124, 0
	s_delay_alu instid0(VALU_DEP_2)
	v_lshlrev_b32_e32 v3, 4, v1
	v_lshlrev_b32_e32 v2, 2, v1
	scratch_store_b32 off, v3, off offset:212 ; 4-byte Folded Spill
	v_cmp_gt_u32_e64 s31, s36, v2
	s_and_saveexec_b32 s2, s31
	s_cbranch_execz .LBB12_4
; %bb.3:
	v_lshlrev_b32_e32 v2, 4, v1
	global_load_b128 v[121:124], v2, s[34:35]
.LBB12_4:
	s_or_b32 exec_lo, exec_lo, s2
	v_dual_mov_b32 v118, 0 :: v_dual_add_nc_u32 v1, s37, v1
	v_mov_b32_e32 v113, 0
	v_dual_mov_b32 v117, 0 :: v_dual_mov_b32 v120, 0
	s_delay_alu instid0(VALU_DEP_3) | instskip(SKIP_1) | instid1(VALU_DEP_2)
	v_dual_mov_b32 v119, 0 :: v_dual_lshlrev_b32 v2, 2, v1
	v_lshlrev_b32_e32 v3, 4, v1
	v_cmp_gt_u32_e64 s30, s36, v2
	scratch_store_b32 off, v3, off offset:208 ; 4-byte Folded Spill
	s_and_saveexec_b32 s2, s30
	s_cbranch_execz .LBB12_6
; %bb.5:
	v_lshlrev_b32_e32 v2, 4, v1
	global_load_b128 v[117:120], v2, s[34:35]
.LBB12_6:
	s_or_b32 exec_lo, exec_lo, s2
	v_dual_mov_b32 v114, 0 :: v_dual_add_nc_u32 v1, s37, v1
	v_dual_mov_b32 v115, 0 :: v_dual_mov_b32 v116, 0
	s_delay_alu instid0(VALU_DEP_2)
	v_lshlrev_b32_e32 v3, 4, v1
	v_lshlrev_b32_e32 v2, 2, v1
	scratch_store_b32 off, v3, off offset:204 ; 4-byte Folded Spill
	v_cmp_gt_u32_e64 s29, s36, v2
	s_and_saveexec_b32 s2, s29
	s_cbranch_execz .LBB12_8
; %bb.7:
	v_lshlrev_b32_e32 v2, 4, v1
	global_load_b128 v[113:116], v2, s[34:35]
.LBB12_8:
	s_or_b32 exec_lo, exec_lo, s2
	v_dual_mov_b32 v110, 0 :: v_dual_add_nc_u32 v1, s37, v1
	v_mov_b32_e32 v105, 0
	v_dual_mov_b32 v109, 0 :: v_dual_mov_b32 v112, 0
	s_delay_alu instid0(VALU_DEP_3) | instskip(SKIP_1) | instid1(VALU_DEP_2)
	v_dual_mov_b32 v111, 0 :: v_dual_lshlrev_b32 v2, 2, v1
	v_lshlrev_b32_e32 v3, 4, v1
	v_cmp_gt_u32_e64 s28, s36, v2
	scratch_store_b32 off, v3, off offset:200 ; 4-byte Folded Spill
	s_and_saveexec_b32 s2, s28
	s_cbranch_execz .LBB12_10
; %bb.9:
	v_lshlrev_b32_e32 v2, 4, v1
	global_load_b128 v[109:112], v2, s[34:35]
.LBB12_10:
	s_or_b32 exec_lo, exec_lo, s2
	v_dual_mov_b32 v106, 0 :: v_dual_add_nc_u32 v1, s37, v1
	v_dual_mov_b32 v107, 0 :: v_dual_mov_b32 v108, 0
	s_delay_alu instid0(VALU_DEP_2)
	v_lshlrev_b32_e32 v3, 4, v1
	v_lshlrev_b32_e32 v2, 2, v1
	scratch_store_b32 off, v3, off offset:196 ; 4-byte Folded Spill
	v_cmp_gt_u32_e64 s27, s36, v2
	s_and_saveexec_b32 s2, s27
	s_cbranch_execz .LBB12_12
; %bb.11:
	v_lshlrev_b32_e32 v2, 4, v1
	global_load_b128 v[105:108], v2, s[34:35]
.LBB12_12:
	s_or_b32 exec_lo, exec_lo, s2
	v_dual_mov_b32 v102, 0 :: v_dual_add_nc_u32 v1, s37, v1
	v_mov_b32_e32 v97, 0
	v_dual_mov_b32 v101, 0 :: v_dual_mov_b32 v104, 0
	s_delay_alu instid0(VALU_DEP_3) | instskip(SKIP_1) | instid1(VALU_DEP_2)
	v_dual_mov_b32 v103, 0 :: v_dual_lshlrev_b32 v2, 2, v1
	v_lshlrev_b32_e32 v3, 4, v1
	v_cmp_gt_u32_e64 s24, s36, v2
	scratch_store_b32 off, v3, off offset:188 ; 4-byte Folded Spill
	s_and_saveexec_b32 s2, s24
	s_cbranch_execz .LBB12_14
; %bb.13:
	v_lshlrev_b32_e32 v2, 4, v1
	global_load_b128 v[101:104], v2, s[34:35]
.LBB12_14:
	s_or_b32 exec_lo, exec_lo, s2
	v_dual_mov_b32 v98, 0 :: v_dual_add_nc_u32 v1, s37, v1
	v_dual_mov_b32 v99, 0 :: v_dual_mov_b32 v100, 0
	s_delay_alu instid0(VALU_DEP_2)
	v_lshlrev_b32_e32 v3, 4, v1
	v_lshlrev_b32_e32 v2, 2, v1
	scratch_store_b32 off, v3, off offset:160 ; 4-byte Folded Spill
	v_cmp_gt_u32_e32 vcc_lo, s36, v2
	s_and_saveexec_b32 s2, vcc_lo
	s_cbranch_execz .LBB12_16
; %bb.15:
	v_lshlrev_b32_e32 v2, 4, v1
	global_load_b128 v[97:100], v2, s[34:35]
.LBB12_16:
	s_or_b32 exec_lo, exec_lo, s2
	v_dual_mov_b32 v94, 0 :: v_dual_add_nc_u32 v1, s37, v1
	v_mov_b32_e32 v89, 0
	v_dual_mov_b32 v93, 0 :: v_dual_mov_b32 v96, 0
	s_delay_alu instid0(VALU_DEP_3) | instskip(SKIP_1) | instid1(VALU_DEP_2)
	v_dual_mov_b32 v95, 0 :: v_dual_lshlrev_b32 v2, 2, v1
	v_lshlrev_b32_e32 v3, 4, v1
	v_cmp_gt_u32_e64 s7, s36, v2
	scratch_store_b32 off, v3, off offset:164 ; 4-byte Folded Spill
	s_and_saveexec_b32 s2, s7
	s_cbranch_execz .LBB12_18
; %bb.17:
	v_lshlrev_b32_e32 v2, 4, v1
	global_load_b128 v[93:96], v2, s[34:35]
.LBB12_18:
	s_or_b32 exec_lo, exec_lo, s2
	v_dual_mov_b32 v90, 0 :: v_dual_add_nc_u32 v1, s37, v1
	v_dual_mov_b32 v91, 0 :: v_dual_mov_b32 v92, 0
	s_delay_alu instid0(VALU_DEP_2)
	v_lshlrev_b32_e32 v3, 4, v1
	v_lshlrev_b32_e32 v2, 2, v1
	scratch_store_b32 off, v3, off offset:168 ; 4-byte Folded Spill
	v_cmp_gt_u32_e64 s12, s36, v2
	s_and_saveexec_b32 s2, s12
	s_cbranch_execz .LBB12_20
; %bb.19:
	v_lshlrev_b32_e32 v2, 4, v1
	global_load_b128 v[89:92], v2, s[34:35]
.LBB12_20:
	s_or_b32 exec_lo, exec_lo, s2
	v_dual_mov_b32 v86, 0 :: v_dual_add_nc_u32 v1, s37, v1
	v_mov_b32_e32 v81, 0
	v_dual_mov_b32 v85, 0 :: v_dual_mov_b32 v88, 0
	s_delay_alu instid0(VALU_DEP_3) | instskip(SKIP_1) | instid1(VALU_DEP_2)
	v_dual_mov_b32 v87, 0 :: v_dual_lshlrev_b32 v2, 2, v1
	v_lshlrev_b32_e32 v3, 4, v1
	v_cmp_gt_u32_e64 s22, s36, v2
	scratch_store_b32 off, v3, off offset:180 ; 4-byte Folded Spill
	s_and_saveexec_b32 s2, s22
	s_cbranch_execz .LBB12_22
; %bb.21:
	v_lshlrev_b32_e32 v2, 4, v1
	global_load_b128 v[85:88], v2, s[34:35]
.LBB12_22:
	s_or_b32 exec_lo, exec_lo, s2
	v_dual_mov_b32 v82, 0 :: v_dual_add_nc_u32 v1, s37, v1
	v_dual_mov_b32 v83, 0 :: v_dual_mov_b32 v84, 0
	s_delay_alu instid0(VALU_DEP_2)
	v_lshlrev_b32_e32 v3, 4, v1
	v_lshlrev_b32_e32 v2, 2, v1
	scratch_store_b32 off, v3, off offset:184 ; 4-byte Folded Spill
	v_cmp_gt_u32_e64 s23, s36, v2
	s_and_saveexec_b32 s2, s23
	s_cbranch_execz .LBB12_24
; %bb.23:
	v_lshlrev_b32_e32 v2, 4, v1
	global_load_b128 v[81:84], v2, s[34:35]
.LBB12_24:
	s_or_b32 exec_lo, exec_lo, s2
	v_dual_mov_b32 v78, 0 :: v_dual_add_nc_u32 v1, s37, v1
	v_mov_b32_e32 v73, 0
	v_dual_mov_b32 v77, 0 :: v_dual_mov_b32 v80, 0
	s_delay_alu instid0(VALU_DEP_3) | instskip(SKIP_1) | instid1(VALU_DEP_2)
	v_dual_mov_b32 v79, 0 :: v_dual_lshlrev_b32 v2, 2, v1
	v_lshlrev_b32_e32 v3, 4, v1
	v_cmp_gt_u32_e64 s25, s36, v2
	scratch_store_b32 off, v3, off offset:192 ; 4-byte Folded Spill
	s_and_saveexec_b32 s2, s25
	s_cbranch_execz .LBB12_26
; %bb.25:
	v_lshlrev_b32_e32 v2, 4, v1
	global_load_b128 v[77:80], v2, s[34:35]
.LBB12_26:
	s_or_b32 exec_lo, exec_lo, s2
	v_dual_mov_b32 v74, 0 :: v_dual_add_nc_u32 v3, s37, v1
	v_dual_mov_b32 v75, 0 :: v_dual_mov_b32 v76, 0
	s_delay_alu instid0(VALU_DEP_2) | instskip(NEXT) | instid1(VALU_DEP_1)
	v_lshlrev_b32_e32 v1, 2, v3
	v_cmp_gt_u32_e64 s26, s36, v1
	s_and_saveexec_b32 s3, s26
	s_cbranch_execz .LBB12_28
; %bb.27:
	v_mov_b32_e32 v4, 0
	s_delay_alu instid0(VALU_DEP_1) | instskip(NEXT) | instid1(VALU_DEP_1)
	v_lshlrev_b64_e32 v[1:2], 4, v[3:4]
	v_add_co_u32 v1, s2, s34, v1
	s_delay_alu instid0(VALU_DEP_1)
	v_add_co_ci_u32_e64 v2, null, s35, v2, s2
	global_load_b128 v[73:76], v[1:2], off
.LBB12_28:
	s_or_b32 exec_lo, exec_lo, s3
	v_dual_mov_b32 v1, v3 :: v_dual_mov_b32 v70, 0
	v_dual_mov_b32 v72, 0 :: v_dual_add_nc_u32 v3, s37, v3
	v_mov_b32_e32 v65, 0
	scratch_store_b64 off, v[1:2], off offset:172 ; 8-byte Folded Spill
	v_mov_b32_e32 v69, 0
	v_lshlrev_b32_e32 v1, 2, v3
	v_mov_b32_e32 v71, 0
	s_delay_alu instid0(VALU_DEP_2)
	v_cmp_gt_u32_e64 s19, s36, v1
	s_and_saveexec_b32 s3, s19
	s_cbranch_execz .LBB12_30
; %bb.29:
	v_mov_b32_e32 v4, 0
	s_delay_alu instid0(VALU_DEP_1) | instskip(NEXT) | instid1(VALU_DEP_1)
	v_lshlrev_b64_e32 v[1:2], 4, v[3:4]
	v_add_co_u32 v1, s2, s34, v1
	s_wait_alu 0xf1ff
	s_delay_alu instid0(VALU_DEP_2)
	v_add_co_ci_u32_e64 v2, null, s35, v2, s2
	global_load_b128 v[69:72], v[1:2], off
.LBB12_30:
	s_wait_alu 0xfffe
	s_or_b32 exec_lo, exec_lo, s3
	v_dual_mov_b32 v1, v3 :: v_dual_mov_b32 v66, 0
	v_dual_mov_b32 v68, 0 :: v_dual_add_nc_u32 v3, s37, v3
	v_mov_b32_e32 v67, 0
	scratch_store_b64 off, v[1:2], off offset:152 ; 8-byte Folded Spill
	v_lshlrev_b32_e32 v1, 2, v3
	s_delay_alu instid0(VALU_DEP_1)
	v_cmp_gt_u32_e64 s2, s36, v1
	s_and_saveexec_b32 s4, s2
	s_cbranch_execz .LBB12_32
; %bb.31:
	v_mov_b32_e32 v4, 0
	s_delay_alu instid0(VALU_DEP_1) | instskip(NEXT) | instid1(VALU_DEP_1)
	v_lshlrev_b64_e32 v[1:2], 4, v[3:4]
	v_add_co_u32 v1, s3, s34, v1
	s_wait_alu 0xf1ff
	s_delay_alu instid0(VALU_DEP_2)
	v_add_co_ci_u32_e64 v2, null, s35, v2, s3
	global_load_b128 v[65:68], v[1:2], off
.LBB12_32:
	s_or_b32 exec_lo, exec_lo, s4
	v_dual_mov_b32 v1, v3 :: v_dual_mov_b32 v62, 0
	v_dual_mov_b32 v64, 0 :: v_dual_add_nc_u32 v3, s37, v3
	v_mov_b32_e32 v57, 0
	scratch_store_b64 off, v[1:2], off offset:32 ; 8-byte Folded Spill
	v_mov_b32_e32 v61, 0
	v_lshlrev_b32_e32 v1, 2, v3
	v_mov_b32_e32 v63, 0
	s_delay_alu instid0(VALU_DEP_2)
	v_cmp_gt_u32_e64 s3, s36, v1
	s_and_saveexec_b32 s5, s3
	s_cbranch_execz .LBB12_34
; %bb.33:
	v_mov_b32_e32 v4, 0
	s_delay_alu instid0(VALU_DEP_1) | instskip(NEXT) | instid1(VALU_DEP_1)
	v_lshlrev_b64_e32 v[1:2], 4, v[3:4]
	v_add_co_u32 v1, s4, s34, v1
	s_delay_alu instid0(VALU_DEP_1)
	v_add_co_ci_u32_e64 v2, null, s35, v2, s4
	global_load_b128 v[61:64], v[1:2], off
.LBB12_34:
	s_or_b32 exec_lo, exec_lo, s5
	v_dual_mov_b32 v1, v3 :: v_dual_mov_b32 v58, 0
	v_dual_mov_b32 v60, 0 :: v_dual_add_nc_u32 v3, s37, v3
	v_mov_b32_e32 v59, 0
	scratch_store_b64 off, v[1:2], off offset:24 ; 8-byte Folded Spill
	v_lshlrev_b32_e32 v1, 2, v3
	s_delay_alu instid0(VALU_DEP_1)
	v_cmp_gt_u32_e64 s4, s36, v1
	s_and_saveexec_b32 s6, s4
	s_cbranch_execz .LBB12_36
; %bb.35:
	v_mov_b32_e32 v4, 0
	s_delay_alu instid0(VALU_DEP_1) | instskip(NEXT) | instid1(VALU_DEP_1)
	v_lshlrev_b64_e32 v[1:2], 4, v[3:4]
	v_add_co_u32 v1, s5, s34, v1
	s_wait_alu 0xf1ff
	s_delay_alu instid0(VALU_DEP_2)
	v_add_co_ci_u32_e64 v2, null, s35, v2, s5
	global_load_b128 v[57:60], v[1:2], off
.LBB12_36:
	s_or_b32 exec_lo, exec_lo, s6
	v_dual_mov_b32 v1, v3 :: v_dual_mov_b32 v54, 0
	v_dual_mov_b32 v56, 0 :: v_dual_add_nc_u32 v3, s37, v3
	v_mov_b32_e32 v49, 0
	scratch_store_b64 off, v[1:2], off offset:48 ; 8-byte Folded Spill
	v_mov_b32_e32 v53, 0
	v_lshlrev_b32_e32 v1, 2, v3
	v_mov_b32_e32 v55, 0
	s_delay_alu instid0(VALU_DEP_2)
	v_cmp_gt_u32_e64 s5, s36, v1
	s_and_saveexec_b32 s8, s5
	s_cbranch_execz .LBB12_38
; %bb.37:
	v_mov_b32_e32 v4, 0
	s_delay_alu instid0(VALU_DEP_1) | instskip(NEXT) | instid1(VALU_DEP_1)
	v_lshlrev_b64_e32 v[1:2], 4, v[3:4]
	v_add_co_u32 v1, s6, s34, v1
	s_delay_alu instid0(VALU_DEP_1)
	v_add_co_ci_u32_e64 v2, null, s35, v2, s6
	global_load_b128 v[53:56], v[1:2], off
.LBB12_38:
	s_or_b32 exec_lo, exec_lo, s8
	v_dual_mov_b32 v1, v3 :: v_dual_mov_b32 v50, 0
	v_dual_mov_b32 v52, 0 :: v_dual_add_nc_u32 v3, s37, v3
	v_mov_b32_e32 v51, 0
	scratch_store_b64 off, v[1:2], off offset:40 ; 8-byte Folded Spill
	v_lshlrev_b32_e32 v1, 2, v3
	s_delay_alu instid0(VALU_DEP_1)
	v_cmp_gt_u32_e64 s6, s36, v1
	s_and_saveexec_b32 s9, s6
	s_cbranch_execz .LBB12_40
; %bb.39:
	v_mov_b32_e32 v4, 0
	s_delay_alu instid0(VALU_DEP_1) | instskip(NEXT) | instid1(VALU_DEP_1)
	v_lshlrev_b64_e32 v[1:2], 4, v[3:4]
	v_add_co_u32 v1, s8, s34, v1
	s_delay_alu instid0(VALU_DEP_1)
	v_add_co_ci_u32_e64 v2, null, s35, v2, s8
	global_load_b128 v[49:52], v[1:2], off
.LBB12_40:
	s_or_b32 exec_lo, exec_lo, s9
	v_dual_mov_b32 v1, v3 :: v_dual_mov_b32 v46, 0
	v_dual_mov_b32 v48, 0 :: v_dual_add_nc_u32 v3, s37, v3
	v_mov_b32_e32 v41, 0
	scratch_store_b64 off, v[1:2], off offset:64 ; 8-byte Folded Spill
	v_mov_b32_e32 v45, 0
	v_lshlrev_b32_e32 v1, 2, v3
	v_mov_b32_e32 v47, 0
	s_delay_alu instid0(VALU_DEP_2)
	v_cmp_gt_u32_e64 s8, s36, v1
	s_and_saveexec_b32 s10, s8
	s_cbranch_execz .LBB12_42
; %bb.41:
	v_mov_b32_e32 v4, 0
	s_delay_alu instid0(VALU_DEP_1) | instskip(NEXT) | instid1(VALU_DEP_1)
	v_lshlrev_b64_e32 v[1:2], 4, v[3:4]
	v_add_co_u32 v1, s9, s34, v1
	s_wait_alu 0xf1ff
	s_delay_alu instid0(VALU_DEP_2)
	v_add_co_ci_u32_e64 v2, null, s35, v2, s9
	global_load_b128 v[45:48], v[1:2], off
.LBB12_42:
	s_or_b32 exec_lo, exec_lo, s10
	v_dual_mov_b32 v1, v3 :: v_dual_mov_b32 v42, 0
	v_dual_mov_b32 v44, 0 :: v_dual_add_nc_u32 v3, s37, v3
	v_mov_b32_e32 v43, 0
	scratch_store_b64 off, v[1:2], off offset:56 ; 8-byte Folded Spill
	v_lshlrev_b32_e32 v1, 2, v3
	s_delay_alu instid0(VALU_DEP_1)
	v_cmp_gt_u32_e64 s9, s36, v1
	s_and_saveexec_b32 s11, s9
	s_cbranch_execz .LBB12_44
; %bb.43:
	v_mov_b32_e32 v4, 0
	s_delay_alu instid0(VALU_DEP_1) | instskip(NEXT) | instid1(VALU_DEP_1)
	v_lshlrev_b64_e32 v[1:2], 4, v[3:4]
	v_add_co_u32 v1, s10, s34, v1
	s_delay_alu instid0(VALU_DEP_1)
	v_add_co_ci_u32_e64 v2, null, s35, v2, s10
	global_load_b128 v[41:44], v[1:2], off
.LBB12_44:
	s_or_b32 exec_lo, exec_lo, s11
	v_dual_mov_b32 v1, v3 :: v_dual_mov_b32 v38, 0
	v_dual_mov_b32 v40, 0 :: v_dual_add_nc_u32 v3, s37, v3
	v_mov_b32_e32 v33, 0
	scratch_store_b64 off, v[1:2], off offset:80 ; 8-byte Folded Spill
	v_mov_b32_e32 v37, 0
	v_lshlrev_b32_e32 v1, 2, v3
	v_mov_b32_e32 v39, 0
	s_delay_alu instid0(VALU_DEP_2)
	v_cmp_gt_u32_e64 s10, s36, v1
	s_and_saveexec_b32 s13, s10
	s_cbranch_execz .LBB12_46
; %bb.45:
	v_mov_b32_e32 v4, 0
	s_delay_alu instid0(VALU_DEP_1) | instskip(NEXT) | instid1(VALU_DEP_1)
	v_lshlrev_b64_e32 v[1:2], 4, v[3:4]
	v_add_co_u32 v1, s11, s34, v1
	s_wait_alu 0xf1ff
	s_delay_alu instid0(VALU_DEP_2)
	v_add_co_ci_u32_e64 v2, null, s35, v2, s11
	global_load_b128 v[37:40], v[1:2], off
.LBB12_46:
	s_or_b32 exec_lo, exec_lo, s13
	v_dual_mov_b32 v1, v3 :: v_dual_mov_b32 v34, 0
	v_dual_mov_b32 v36, 0 :: v_dual_add_nc_u32 v3, s37, v3
	v_mov_b32_e32 v35, 0
	scratch_store_b64 off, v[1:2], off offset:72 ; 8-byte Folded Spill
	v_lshlrev_b32_e32 v1, 2, v3
	s_delay_alu instid0(VALU_DEP_1)
	v_cmp_gt_u32_e64 s11, s36, v1
	s_and_saveexec_b32 s14, s11
	s_cbranch_execz .LBB12_48
; %bb.47:
	v_mov_b32_e32 v4, 0
	s_delay_alu instid0(VALU_DEP_1) | instskip(NEXT) | instid1(VALU_DEP_1)
	v_lshlrev_b64_e32 v[1:2], 4, v[3:4]
	v_add_co_u32 v1, s13, s34, v1
	s_delay_alu instid0(VALU_DEP_1)
	v_add_co_ci_u32_e64 v2, null, s35, v2, s13
	global_load_b128 v[33:36], v[1:2], off
.LBB12_48:
	s_or_b32 exec_lo, exec_lo, s14
	v_dual_mov_b32 v1, v3 :: v_dual_mov_b32 v30, 0
	v_dual_mov_b32 v32, 0 :: v_dual_add_nc_u32 v3, s37, v3
	v_mov_b32_e32 v25, 0
	scratch_store_b64 off, v[1:2], off offset:96 ; 8-byte Folded Spill
	v_mov_b32_e32 v29, 0
	v_lshlrev_b32_e32 v1, 2, v3
	v_mov_b32_e32 v31, 0
	s_delay_alu instid0(VALU_DEP_2)
	v_cmp_gt_u32_e64 s13, s36, v1
	s_and_saveexec_b32 s15, s13
	s_cbranch_execz .LBB12_50
; %bb.49:
	v_mov_b32_e32 v4, 0
	s_delay_alu instid0(VALU_DEP_1) | instskip(NEXT) | instid1(VALU_DEP_1)
	v_lshlrev_b64_e32 v[1:2], 4, v[3:4]
	v_add_co_u32 v1, s14, s34, v1
	s_delay_alu instid0(VALU_DEP_1)
	v_add_co_ci_u32_e64 v2, null, s35, v2, s14
	global_load_b128 v[29:32], v[1:2], off
.LBB12_50:
	s_or_b32 exec_lo, exec_lo, s15
	v_dual_mov_b32 v1, v3 :: v_dual_mov_b32 v26, 0
	v_dual_mov_b32 v28, 0 :: v_dual_add_nc_u32 v3, s37, v3
	v_mov_b32_e32 v27, 0
	scratch_store_b64 off, v[1:2], off offset:88 ; 8-byte Folded Spill
	v_lshlrev_b32_e32 v1, 2, v3
	s_delay_alu instid0(VALU_DEP_1)
	v_cmp_gt_u32_e64 s14, s36, v1
	s_and_saveexec_b32 s16, s14
	s_cbranch_execz .LBB12_52
; %bb.51:
	v_mov_b32_e32 v4, 0
	s_delay_alu instid0(VALU_DEP_1) | instskip(NEXT) | instid1(VALU_DEP_1)
	v_lshlrev_b64_e32 v[1:2], 4, v[3:4]
	v_add_co_u32 v1, s15, s34, v1
	s_wait_alu 0xf1ff
	s_delay_alu instid0(VALU_DEP_2)
	v_add_co_ci_u32_e64 v2, null, s35, v2, s15
	global_load_b128 v[25:28], v[1:2], off
.LBB12_52:
	s_or_b32 exec_lo, exec_lo, s16
	v_dual_mov_b32 v1, v3 :: v_dual_mov_b32 v22, 0
	v_dual_mov_b32 v24, 0 :: v_dual_add_nc_u32 v3, s37, v3
	v_mov_b32_e32 v17, 0
	scratch_store_b64 off, v[1:2], off offset:112 ; 8-byte Folded Spill
	v_mov_b32_e32 v21, 0
	v_lshlrev_b32_e32 v1, 2, v3
	v_mov_b32_e32 v23, 0
	s_delay_alu instid0(VALU_DEP_2)
	v_cmp_gt_u32_e64 s15, s36, v1
	s_and_saveexec_b32 s17, s15
	s_cbranch_execz .LBB12_54
; %bb.53:
	v_mov_b32_e32 v4, 0
	s_delay_alu instid0(VALU_DEP_1) | instskip(NEXT) | instid1(VALU_DEP_1)
	v_lshlrev_b64_e32 v[1:2], 4, v[3:4]
	v_add_co_u32 v1, s16, s34, v1
	s_delay_alu instid0(VALU_DEP_1)
	v_add_co_ci_u32_e64 v2, null, s35, v2, s16
	global_load_b128 v[21:24], v[1:2], off
.LBB12_54:
	s_or_b32 exec_lo, exec_lo, s17
	v_dual_mov_b32 v1, v3 :: v_dual_mov_b32 v18, 0
	v_dual_mov_b32 v20, 0 :: v_dual_add_nc_u32 v3, s37, v3
	v_mov_b32_e32 v19, 0
	scratch_store_b64 off, v[1:2], off offset:104 ; 8-byte Folded Spill
	v_lshlrev_b32_e32 v1, 2, v3
	s_delay_alu instid0(VALU_DEP_1)
	v_cmp_gt_u32_e64 s16, s36, v1
	s_and_saveexec_b32 s18, s16
	s_cbranch_execz .LBB12_56
; %bb.55:
	v_mov_b32_e32 v4, 0
	s_delay_alu instid0(VALU_DEP_1) | instskip(NEXT) | instid1(VALU_DEP_1)
	v_lshlrev_b64_e32 v[1:2], 4, v[3:4]
	v_add_co_u32 v1, s17, s34, v1
	s_wait_alu 0xf1ff
	s_delay_alu instid0(VALU_DEP_2)
	v_add_co_ci_u32_e64 v2, null, s35, v2, s17
	global_load_b128 v[17:20], v[1:2], off
.LBB12_56:
	s_or_b32 exec_lo, exec_lo, s18
	v_dual_mov_b32 v1, v3 :: v_dual_mov_b32 v14, 0
	v_dual_mov_b32 v16, 0 :: v_dual_add_nc_u32 v3, s37, v3
	v_mov_b32_e32 v9, 0
	scratch_store_b64 off, v[1:2], off offset:128 ; 8-byte Folded Spill
	v_mov_b32_e32 v13, 0
	v_lshlrev_b32_e32 v1, 2, v3
	v_mov_b32_e32 v15, 0
	s_delay_alu instid0(VALU_DEP_2)
	v_cmp_gt_u32_e64 s17, s36, v1
	s_and_saveexec_b32 s20, s17
	s_cbranch_execz .LBB12_58
; %bb.57:
	v_mov_b32_e32 v4, 0
	s_delay_alu instid0(VALU_DEP_1) | instskip(NEXT) | instid1(VALU_DEP_1)
	v_lshlrev_b64_e32 v[1:2], 4, v[3:4]
	v_add_co_u32 v1, s18, s34, v1
	s_delay_alu instid0(VALU_DEP_1)
	v_add_co_ci_u32_e64 v2, null, s35, v2, s18
	global_load_b128 v[13:16], v[1:2], off
.LBB12_58:
	s_or_b32 exec_lo, exec_lo, s20
	v_dual_mov_b32 v1, v3 :: v_dual_mov_b32 v10, 0
	v_dual_mov_b32 v12, 0 :: v_dual_add_nc_u32 v3, s37, v3
	v_mov_b32_e32 v11, 0
	scratch_store_b64 off, v[1:2], off offset:120 ; 8-byte Folded Spill
	v_lshlrev_b32_e32 v1, 2, v3
	s_delay_alu instid0(VALU_DEP_1)
	v_cmp_gt_u32_e64 s18, s36, v1
	s_and_saveexec_b32 s21, s18
	s_cbranch_execz .LBB12_60
; %bb.59:
	v_mov_b32_e32 v4, 0
	s_delay_alu instid0(VALU_DEP_1) | instskip(NEXT) | instid1(VALU_DEP_1)
	v_lshlrev_b64_e32 v[1:2], 4, v[3:4]
	v_add_co_u32 v1, s20, s34, v1
	s_delay_alu instid0(VALU_DEP_1)
	v_add_co_ci_u32_e64 v2, null, s35, v2, s20
	global_load_b128 v[9:12], v[1:2], off
.LBB12_60:
	s_or_b32 exec_lo, exec_lo, s21
	v_dual_mov_b32 v1, v3 :: v_dual_add_nc_u32 v4, s37, v3
	v_dual_mov_b32 v5, 0 :: v_dual_mov_b32 v6, 0
	v_dual_mov_b32 v7, 0 :: v_dual_mov_b32 v8, 0
	scratch_store_b64 off, v[1:2], off offset:144 ; 8-byte Folded Spill
	v_dual_mov_b32 v1, 0 :: v_dual_lshlrev_b32 v2, 2, v4
	s_delay_alu instid0(VALU_DEP_1)
	v_cmp_gt_u32_e64 s20, s36, v2
	s_and_saveexec_b32 s38, s20
	s_cbranch_execz .LBB12_62
; %bb.61:
	v_mov_b32_e32 v5, 0
	s_delay_alu instid0(VALU_DEP_1) | instskip(NEXT) | instid1(VALU_DEP_1)
	v_lshlrev_b64_e32 v[2:3], 4, v[4:5]
	v_add_co_u32 v2, s21, s34, v2
	s_wait_alu 0xf1ff
	s_delay_alu instid0(VALU_DEP_2)
	v_add_co_ci_u32_e64 v3, null, s35, v3, s21
	global_load_b128 v[5:8], v[2:3], off
.LBB12_62:
	s_or_b32 exec_lo, exec_lo, s38
	v_mov_b32_e32 v2, v4
	scratch_store_b64 off, v[2:3], off offset:136 ; 8-byte Folded Spill
	v_add_nc_u32_e32 v3, s37, v4
	s_delay_alu instid0(VALU_DEP_1)
	v_mov_b32_e32 v2, v3
	v_lshlrev_b32_e32 v4, 2, v3
	scratch_store_b64 off, v[2:3], off      ; 8-byte Folded Spill
	v_dual_mov_b32 v2, 0 :: v_dual_mov_b32 v3, 0
	v_cmp_gt_u32_e64 s21, s36, v4
	v_mov_b32_e32 v4, 0
	s_and_saveexec_b32 s36, s21
	s_cbranch_execz .LBB12_64
; %bb.63:
	scratch_load_b64 v[1:2], off, off th:TH_LOAD_LU ; 8-byte Folded Reload
	s_wait_loadcnt 0x0
	v_dual_mov_b32 v3, 0 :: v_dual_mov_b32 v2, v1
	scratch_store_b64 off, v[1:2], off      ; 8-byte Folded Spill
	v_lshlrev_b64_e32 v[1:2], 4, v[2:3]
	s_delay_alu instid0(VALU_DEP_1) | instskip(SKIP_1) | instid1(VALU_DEP_2)
	v_add_co_u32 v1, s34, s34, v1
	s_wait_alu 0xf1ff
	v_add_co_ci_u32_e64 v2, null, s35, v2, s34
	global_load_b128 v[1:4], v[1:2], off
.LBB12_64:
	s_wait_alu 0xfffe
	s_or_b32 exec_lo, exec_lo, s36
	s_wait_loadcnt 0x0
	v_dual_add_f32 v129, v125, v126 :: v_dual_add_f32 v130, v127, v128
	v_dual_add_f32 v131, v121, v122 :: v_dual_add_f32 v132, v123, v124
	v_dual_sub_f32 v133, v121, v122 :: v_dual_sub_f32 v134, v123, v124
	s_delay_alu instid0(VALU_DEP_3) | instskip(SKIP_2) | instid1(VALU_DEP_2)
	v_dual_add_f32 v122, v130, v129 :: v_dual_and_b32 v121, 1, v0
	v_dual_sub_f32 v125, v125, v126 :: v_dual_sub_f32 v126, v127, v128
	s_wait_storecnt 0x0
	v_cmp_eq_u32_e64 s36, 0, v121
	v_mbcnt_lo_u32_b32 v121, -1, 0
	s_barrier_signal -1
	s_barrier_wait -1
	global_inv scope:SCOPE_SE
	v_xor_b32_e32 v123, 1, v121
	v_xor_b32_e32 v124, 2, v121
	;; [unrolled: 1-line block ×5, first 2 shown]
	v_cmp_gt_i32_e64 s34, 32, v123
	s_wait_alu 0xf1ff
	s_delay_alu instid0(VALU_DEP_1) | instskip(SKIP_1) | instid1(VALU_DEP_2)
	v_cndmask_b32_e64 v123, v121, v123, s34
	v_cmp_gt_i32_e64 s34, 32, v124
	v_lshlrev_b32_e32 v140, 2, v123
	s_wait_alu 0xf1ff
	s_delay_alu instid0(VALU_DEP_2) | instskip(SKIP_1) | instid1(VALU_DEP_2)
	v_cndmask_b32_e64 v124, v121, v124, s34
	v_cmp_gt_i32_e64 s34, 32, v127
	v_lshlrev_b32_e32 v136, 2, v124
	s_wait_alu 0xf1ff
	s_delay_alu instid0(VALU_DEP_2) | instskip(SKIP_1) | instid1(VALU_DEP_2)
	v_cndmask_b32_e64 v127, v121, v127, s34
	v_cmp_gt_i32_e64 s34, 32, v128
	v_lshlrev_b32_e32 v138, 2, v127
	s_wait_alu 0xf1ff
	s_delay_alu instid0(VALU_DEP_2) | instskip(SKIP_2) | instid1(VALU_DEP_1)
	v_cndmask_b32_e64 v128, v121, v128, s34
	v_cmp_gt_i32_e64 s34, 32, v135
	s_wait_alu 0xf1ff
	v_cndmask_b32_e64 v135, v121, v135, s34
	ds_bpermute_b32 v121, v140, v122
	v_cndmask_b32_e64 v122, -v122, v122, s36
	s_wait_dscnt 0x0
	s_delay_alu instid0(VALU_DEP_1) | instskip(NEXT) | instid1(VALU_DEP_1)
	v_dual_add_f32 v121, v122, v121 :: v_dual_and_b32 v122, 2, v0
	v_cmp_eq_u32_e64 s34, 0, v122
	v_add_f32_e32 v122, v125, v126
	ds_bpermute_b32 v123, v140, v122
	v_cndmask_b32_e64 v122, -v122, v122, s36
	s_wait_dscnt 0x0
	s_delay_alu instid0(VALU_DEP_1) | instskip(SKIP_4) | instid1(VALU_DEP_1)
	v_add_f32_e32 v122, v122, v123
	ds_bpermute_b32 v123, v136, v121
	s_wait_alu 0xf1ff
	v_cndmask_b32_e64 v121, -v121, v121, s34
	s_wait_dscnt 0x0
	v_add_f32_e32 v121, v121, v123
	v_and_b32_e32 v123, 4, v0
	s_delay_alu instid0(VALU_DEP_1) | instskip(SKIP_3) | instid1(VALU_DEP_1)
	v_cmp_eq_u32_e64 s35, 0, v123
	ds_bpermute_b32 v123, v136, v122
	v_cndmask_b32_e64 v122, -v122, v122, s34
	s_wait_dscnt 0x0
	v_add_f32_e32 v122, v122, v123
	ds_bpermute_b32 v123, v138, v121
	s_wait_alu 0xf1ff
	v_cndmask_b32_e64 v121, -v121, v121, s35
	s_wait_dscnt 0x0
	s_delay_alu instid0(VALU_DEP_1) | instskip(SKIP_1) | instid1(VALU_DEP_1)
	v_add_f32_e32 v123, v121, v123
	v_and_b32_e32 v121, 8, v0
	v_cmp_eq_u32_e64 s37, 0, v121
	ds_bpermute_b32 v121, v138, v122
	v_cndmask_b32_e64 v122, -v122, v122, s35
	s_wait_dscnt 0x0
	s_delay_alu instid0(VALU_DEP_1) | instskip(SKIP_4) | instid1(VALU_DEP_1)
	v_dual_add_f32 v122, v122, v121 :: v_dual_lshlrev_b32 v121, 2, v128
	ds_bpermute_b32 v124, v121, v123
	s_wait_alu 0xf1ff
	v_cndmask_b32_e64 v123, -v123, v123, s37
	s_wait_dscnt 0x0
	v_add_f32_e32 v123, v123, v124
	v_and_b32_e32 v124, 16, v0
	s_delay_alu instid0(VALU_DEP_1) | instskip(SKIP_3) | instid1(VALU_DEP_1)
	v_cmp_eq_u32_e64 s38, 0, v124
	ds_bpermute_b32 v124, v121, v122
	v_cndmask_b32_e64 v122, -v122, v122, s37
	s_wait_dscnt 0x0
	v_add_f32_e32 v124, v122, v124
	v_lshlrev_b32_e32 v122, 2, v135
	ds_bpermute_b32 v127, v122, v123
	ds_bpermute_b32 v128, v122, v124
	v_cndmask_b32_e64 v123, -v123, v123, s38
	v_cndmask_b32_e64 v124, -v124, v124, s38
	s_wait_dscnt 0x1
	s_delay_alu instid0(VALU_DEP_2) | instskip(SKIP_1) | instid1(VALU_DEP_2)
	v_add_f32_e32 v127, v123, v127
	s_wait_dscnt 0x0
	v_dual_sub_f32 v123, v129, v130 :: v_dual_add_f32 v128, v124, v128
	ds_bpermute_b32 v124, v140, v123
	v_cndmask_b32_e64 v123, -v123, v123, s36
	s_wait_dscnt 0x0
	s_delay_alu instid0(VALU_DEP_1) | instskip(SKIP_3) | instid1(VALU_DEP_1)
	v_add_f32_e32 v123, v123, v124
	ds_bpermute_b32 v124, v136, v123
	v_cndmask_b32_e64 v123, -v123, v123, s34
	s_wait_dscnt 0x0
	v_add_f32_e32 v123, v123, v124
	ds_bpermute_b32 v124, v138, v123
	v_cndmask_b32_e64 v123, -v123, v123, s35
	s_wait_dscnt 0x0
	s_delay_alu instid0(VALU_DEP_1) | instskip(SKIP_3) | instid1(VALU_DEP_1)
	v_add_f32_e32 v123, v123, v124
	ds_bpermute_b32 v124, v121, v123
	v_cndmask_b32_e64 v123, -v123, v123, s37
	s_wait_dscnt 0x0
	v_add_f32_e32 v123, v123, v124
	ds_bpermute_b32 v124, v122, v123
	v_cndmask_b32_e64 v123, -v123, v123, s38
	s_wait_dscnt 0x0
	s_delay_alu instid0(VALU_DEP_1) | instskip(SKIP_4) | instid1(VALU_DEP_1)
	v_add_f32_e32 v129, v123, v124
	v_sub_f32_e32 v123, v125, v126
	ds_bpermute_b32 v124, v140, v123
	v_cndmask_b32_e64 v123, -v123, v123, s36
	s_wait_dscnt 0x0
	v_add_f32_e32 v123, v123, v124
	ds_bpermute_b32 v124, v136, v123
	v_cndmask_b32_e64 v123, -v123, v123, s34
	s_wait_dscnt 0x0
	s_delay_alu instid0(VALU_DEP_1) | instskip(SKIP_3) | instid1(VALU_DEP_1)
	v_add_f32_e32 v123, v123, v124
	ds_bpermute_b32 v124, v138, v123
	v_cndmask_b32_e64 v123, -v123, v123, s35
	s_wait_dscnt 0x0
	v_add_f32_e32 v123, v123, v124
	ds_bpermute_b32 v124, v121, v123
	v_cndmask_b32_e64 v123, -v123, v123, s37
	s_wait_dscnt 0x0
	s_delay_alu instid0(VALU_DEP_1) | instskip(SKIP_3) | instid1(VALU_DEP_1)
	v_add_f32_e32 v123, v123, v124
	ds_bpermute_b32 v124, v122, v123
	v_cndmask_b32_e64 v123, -v123, v123, s38
	s_wait_dscnt 0x0
	v_dual_add_f32 v130, v123, v124 :: v_dual_add_f32 v123, v132, v131
	ds_bpermute_b32 v124, v140, v123
	v_cndmask_b32_e64 v123, -v123, v123, s36
	s_wait_dscnt 0x0
	s_delay_alu instid0(VALU_DEP_1) | instskip(SKIP_3) | instid1(VALU_DEP_1)
	v_dual_add_f32 v123, v123, v124 :: v_dual_add_f32 v124, v133, v134
	ds_bpermute_b32 v125, v140, v124
	v_cndmask_b32_e64 v124, -v124, v124, s36
	s_wait_dscnt 0x0
	v_add_f32_e32 v124, v124, v125
	ds_bpermute_b32 v125, v136, v123
	v_cndmask_b32_e64 v123, -v123, v123, s34
	s_wait_dscnt 0x0
	s_delay_alu instid0(VALU_DEP_1) | instskip(SKIP_3) | instid1(VALU_DEP_1)
	v_add_f32_e32 v123, v123, v125
	ds_bpermute_b32 v125, v136, v124
	v_cndmask_b32_e64 v124, -v124, v124, s34
	s_wait_dscnt 0x0
	v_add_f32_e32 v124, v124, v125
	ds_bpermute_b32 v125, v138, v123
	v_cndmask_b32_e64 v123, -v123, v123, s35
	s_wait_dscnt 0x0
	s_delay_alu instid0(VALU_DEP_1) | instskip(SKIP_3) | instid1(VALU_DEP_1)
	v_add_f32_e32 v123, v123, v125
	;; [unrolled: 9-line block ×3, first 2 shown]
	ds_bpermute_b32 v125, v121, v124
	v_cndmask_b32_e64 v124, -v124, v124, s37
	s_wait_dscnt 0x0
	v_add_f32_e32 v124, v124, v125
	ds_bpermute_b32 v125, v122, v123
	v_cndmask_b32_e64 v123, -v123, v123, s38
	ds_bpermute_b32 v126, v122, v124
	v_cndmask_b32_e64 v124, -v124, v124, s38
	s_wait_dscnt 0x1
	v_add_f32_e32 v123, v123, v125
	s_wait_dscnt 0x0
	s_delay_alu instid0(VALU_DEP_2) | instskip(SKIP_3) | instid1(VALU_DEP_1)
	v_dual_sub_f32 v125, v131, v132 :: v_dual_add_f32 v124, v124, v126
	ds_bpermute_b32 v126, v140, v125
	v_cndmask_b32_e64 v125, -v125, v125, s36
	s_wait_dscnt 0x0
	v_add_f32_e32 v125, v125, v126
	ds_bpermute_b32 v126, v136, v125
	v_cndmask_b32_e64 v125, -v125, v125, s34
	s_wait_dscnt 0x0
	s_delay_alu instid0(VALU_DEP_1) | instskip(SKIP_3) | instid1(VALU_DEP_1)
	v_add_f32_e32 v125, v125, v126
	ds_bpermute_b32 v126, v138, v125
	v_cndmask_b32_e64 v125, -v125, v125, s35
	s_wait_dscnt 0x0
	v_add_f32_e32 v125, v125, v126
	ds_bpermute_b32 v126, v121, v125
	v_cndmask_b32_e64 v125, -v125, v125, s37
	s_wait_dscnt 0x0
	s_delay_alu instid0(VALU_DEP_1) | instskip(SKIP_3) | instid1(VALU_DEP_1)
	v_add_f32_e32 v125, v125, v126
	ds_bpermute_b32 v126, v122, v125
	v_cndmask_b32_e64 v125, -v125, v125, s38
	s_wait_dscnt 0x0
	v_add_f32_e32 v125, v125, v126
	v_sub_f32_e32 v126, v133, v134
	ds_bpermute_b32 v131, v140, v126
	v_cndmask_b32_e64 v126, -v126, v126, s36
	s_wait_dscnt 0x0
	s_delay_alu instid0(VALU_DEP_1) | instskip(SKIP_3) | instid1(VALU_DEP_1)
	v_add_f32_e32 v126, v126, v131
	ds_bpermute_b32 v131, v136, v126
	v_cndmask_b32_e64 v126, -v126, v126, s34
	s_wait_dscnt 0x0
	v_add_f32_e32 v126, v126, v131
	ds_bpermute_b32 v131, v138, v126
	v_cndmask_b32_e64 v126, -v126, v126, s35
	s_wait_dscnt 0x0
	s_delay_alu instid0(VALU_DEP_1) | instskip(SKIP_3) | instid1(VALU_DEP_1)
	v_add_f32_e32 v126, v126, v131
	ds_bpermute_b32 v131, v121, v126
	v_cndmask_b32_e64 v126, -v126, v126, s37
	s_wait_dscnt 0x0
	v_add_f32_e32 v126, v126, v131
	ds_bpermute_b32 v131, v122, v126
	v_cndmask_b32_e64 v126, -v126, v126, s38
	s_wait_dscnt 0x0
	s_delay_alu instid0(VALU_DEP_1) | instskip(SKIP_1) | instid1(VALU_DEP_1)
	v_add_f32_e32 v126, v126, v131
	v_lshrrev_b32_e32 v131, 5, v0
	v_xor_b32_e32 v131, v131, v0
	s_delay_alu instid0(VALU_DEP_1)
	v_lshl_add_u32 v134, v131, 4, 0
	ds_store_b128 v134, v[127:130]
	ds_store_b128 v134, v[123:126] offset:4096
	v_dual_add_f32 v123, v117, v118 :: v_dual_add_f32 v124, v119, v120
	v_dual_sub_f32 v117, v117, v118 :: v_dual_sub_f32 v118, v119, v120
	v_add_f32_e32 v119, v113, v114
	v_sub_f32_e32 v125, v113, v114
	s_delay_alu instid0(VALU_DEP_4) | instskip(SKIP_4) | instid1(VALU_DEP_1)
	v_dual_add_f32 v113, v124, v123 :: v_dual_add_f32 v120, v115, v116
	v_sub_f32_e32 v126, v115, v116
	ds_bpermute_b32 v114, v140, v113
	v_cndmask_b32_e64 v113, -v113, v113, s36
	s_wait_dscnt 0x0
	v_add_f32_e32 v113, v113, v114
	v_add_f32_e32 v114, v117, v118
	ds_bpermute_b32 v115, v140, v114
	v_cndmask_b32_e64 v114, -v114, v114, s36
	s_wait_dscnt 0x0
	s_delay_alu instid0(VALU_DEP_1) | instskip(SKIP_3) | instid1(VALU_DEP_1)
	v_add_f32_e32 v114, v114, v115
	ds_bpermute_b32 v115, v136, v113
	v_cndmask_b32_e64 v113, -v113, v113, s34
	s_wait_dscnt 0x0
	v_add_f32_e32 v113, v113, v115
	ds_bpermute_b32 v115, v136, v114
	v_cndmask_b32_e64 v114, -v114, v114, s34
	s_wait_dscnt 0x0
	s_delay_alu instid0(VALU_DEP_1) | instskip(SKIP_3) | instid1(VALU_DEP_1)
	v_add_f32_e32 v114, v114, v115
	ds_bpermute_b32 v115, v138, v113
	v_cndmask_b32_e64 v113, -v113, v113, s35
	s_wait_dscnt 0x0
	;; [unrolled: 9-line block ×3, first 2 shown]
	v_add_f32_e32 v113, v113, v115
	ds_bpermute_b32 v115, v121, v114
	v_cndmask_b32_e64 v114, -v114, v114, s37
	s_wait_dscnt 0x0
	s_delay_alu instid0(VALU_DEP_1)
	v_add_f32_e32 v114, v114, v115
	ds_bpermute_b32 v115, v122, v113
	v_cndmask_b32_e64 v113, -v113, v113, s38
	ds_bpermute_b32 v116, v122, v114
	v_cndmask_b32_e64 v114, -v114, v114, s38
	s_wait_dscnt 0x0
	s_delay_alu instid0(VALU_DEP_1) | instskip(SKIP_4) | instid1(VALU_DEP_1)
	v_dual_add_f32 v113, v113, v115 :: v_dual_add_f32 v114, v114, v116
	v_sub_f32_e32 v115, v123, v124
	ds_bpermute_b32 v116, v140, v115
	v_cndmask_b32_e64 v115, -v115, v115, s36
	s_wait_dscnt 0x0
	v_add_f32_e32 v115, v115, v116
	ds_bpermute_b32 v116, v136, v115
	v_cndmask_b32_e64 v115, -v115, v115, s34
	s_wait_dscnt 0x0
	s_delay_alu instid0(VALU_DEP_1) | instskip(SKIP_3) | instid1(VALU_DEP_1)
	v_add_f32_e32 v115, v115, v116
	ds_bpermute_b32 v116, v138, v115
	v_cndmask_b32_e64 v115, -v115, v115, s35
	s_wait_dscnt 0x0
	v_add_f32_e32 v115, v115, v116
	ds_bpermute_b32 v116, v121, v115
	v_cndmask_b32_e64 v115, -v115, v115, s37
	s_wait_dscnt 0x0
	s_delay_alu instid0(VALU_DEP_1) | instskip(SKIP_3) | instid1(VALU_DEP_1)
	v_add_f32_e32 v115, v115, v116
	ds_bpermute_b32 v116, v122, v115
	v_cndmask_b32_e64 v115, -v115, v115, s38
	s_wait_dscnt 0x0
	v_dual_add_f32 v115, v115, v116 :: v_dual_sub_f32 v116, v117, v118
	ds_bpermute_b32 v117, v140, v116
	v_cndmask_b32_e64 v116, -v116, v116, s36
	s_wait_dscnt 0x0
	s_delay_alu instid0(VALU_DEP_1) | instskip(SKIP_3) | instid1(VALU_DEP_1)
	v_add_f32_e32 v116, v116, v117
	ds_bpermute_b32 v117, v136, v116
	v_cndmask_b32_e64 v116, -v116, v116, s34
	s_wait_dscnt 0x0
	v_add_f32_e32 v116, v116, v117
	ds_bpermute_b32 v117, v138, v116
	v_cndmask_b32_e64 v116, -v116, v116, s35
	s_wait_dscnt 0x0
	s_delay_alu instid0(VALU_DEP_1) | instskip(SKIP_3) | instid1(VALU_DEP_1)
	v_add_f32_e32 v116, v116, v117
	ds_bpermute_b32 v117, v121, v116
	v_cndmask_b32_e64 v116, -v116, v116, s37
	s_wait_dscnt 0x0
	v_add_f32_e32 v116, v116, v117
	ds_bpermute_b32 v117, v122, v116
	v_cndmask_b32_e64 v116, -v116, v116, s38
	s_wait_dscnt 0x0
	s_delay_alu instid0(VALU_DEP_1)
	v_add_f32_e32 v116, v116, v117
	v_add_f32_e32 v117, v120, v119
	v_sub_f32_e32 v119, v119, v120
	ds_bpermute_b32 v118, v140, v117
	v_cndmask_b32_e64 v117, -v117, v117, s36
	ds_bpermute_b32 v120, v140, v119
	v_cndmask_b32_e64 v119, -v119, v119, s36
	s_wait_dscnt 0x1
	v_add_f32_e32 v117, v117, v118
	s_wait_dscnt 0x0
	s_delay_alu instid0(VALU_DEP_2)
	v_dual_add_f32 v118, v125, v126 :: v_dual_add_f32 v119, v119, v120
	ds_bpermute_b32 v123, v140, v118
	v_cndmask_b32_e64 v118, -v118, v118, s36
	ds_bpermute_b32 v120, v136, v119
	v_cndmask_b32_e64 v119, -v119, v119, s34
	s_wait_dscnt 0x1
	v_add_f32_e32 v118, v118, v123
	ds_bpermute_b32 v123, v136, v117
	v_cndmask_b32_e64 v117, -v117, v117, s34
	s_wait_dscnt 0x1
	v_add_f32_e32 v119, v119, v120
	;; [unrolled: 4-line block ×7, first 2 shown]
	ds_bpermute_b32 v123, v138, v118
	v_cndmask_b32_e64 v118, -v118, v118, s35
	s_wait_dscnt 0x1
	v_dual_add_f32 v119, v119, v120 :: v_dual_sub_f32 v120, v125, v126
	s_wait_dscnt 0x0
	s_delay_alu instid0(VALU_DEP_2) | instskip(SKIP_3) | instid1(VALU_DEP_1)
	v_add_f32_e32 v118, v118, v123
	ds_bpermute_b32 v123, v121, v117
	v_cndmask_b32_e64 v117, -v117, v117, s37
	s_wait_dscnt 0x0
	v_add_f32_e32 v117, v117, v123
	ds_bpermute_b32 v123, v121, v118
	v_cndmask_b32_e64 v118, -v118, v118, s37
	s_wait_dscnt 0x0
	s_delay_alu instid0(VALU_DEP_1)
	v_add_f32_e32 v118, v118, v123
	ds_bpermute_b32 v123, v122, v117
	v_cndmask_b32_e64 v117, -v117, v117, s38
	ds_bpermute_b32 v124, v122, v118
	v_cndmask_b32_e64 v118, -v118, v118, s38
	s_wait_dscnt 0x1
	v_add_f32_e32 v117, v117, v123
	ds_bpermute_b32 v123, v140, v120
	v_cndmask_b32_e64 v120, -v120, v120, s36
	s_wait_dscnt 0x1
	v_add_f32_e32 v118, v118, v124
	s_wait_dscnt 0x0
	s_delay_alu instid0(VALU_DEP_2) | instskip(SKIP_3) | instid1(VALU_DEP_1)
	v_add_f32_e32 v120, v120, v123
	ds_bpermute_b32 v123, v136, v120
	v_cndmask_b32_e64 v120, -v120, v120, s34
	s_wait_dscnt 0x0
	v_add_f32_e32 v120, v120, v123
	ds_bpermute_b32 v123, v138, v120
	v_cndmask_b32_e64 v120, -v120, v120, s35
	s_wait_dscnt 0x0
	s_delay_alu instid0(VALU_DEP_1) | instskip(SKIP_3) | instid1(VALU_DEP_1)
	v_add_f32_e32 v120, v120, v123
	ds_bpermute_b32 v123, v121, v120
	v_cndmask_b32_e64 v120, -v120, v120, s37
	s_wait_dscnt 0x0
	v_add_f32_e32 v120, v120, v123
	ds_bpermute_b32 v123, v122, v120
	v_cndmask_b32_e64 v120, -v120, v120, s38
	s_wait_dscnt 0x0
	s_delay_alu instid0(VALU_DEP_1)
	v_add_f32_e32 v120, v120, v123
	ds_store_b128 v134, v[113:116] offset:8192
	ds_store_b128 v134, v[117:120] offset:12288
	v_dual_add_f32 v113, v109, v110 :: v_dual_add_f32 v114, v111, v112
	v_dual_sub_f32 v109, v109, v110 :: v_dual_sub_f32 v110, v111, v112
	v_add_f32_e32 v111, v105, v106
	v_sub_f32_e32 v115, v105, v106
	s_delay_alu instid0(VALU_DEP_4) | instskip(SKIP_4) | instid1(VALU_DEP_1)
	v_dual_add_f32 v105, v114, v113 :: v_dual_add_f32 v112, v107, v108
	v_sub_f32_e32 v116, v107, v108
	ds_bpermute_b32 v106, v140, v105
	v_cndmask_b32_e64 v105, -v105, v105, s36
	s_wait_dscnt 0x0
	v_add_f32_e32 v105, v105, v106
	v_add_f32_e32 v106, v109, v110
	ds_bpermute_b32 v107, v140, v106
	v_cndmask_b32_e64 v106, -v106, v106, s36
	s_wait_dscnt 0x0
	s_delay_alu instid0(VALU_DEP_1) | instskip(SKIP_3) | instid1(VALU_DEP_1)
	v_add_f32_e32 v106, v106, v107
	ds_bpermute_b32 v107, v136, v105
	v_cndmask_b32_e64 v105, -v105, v105, s34
	s_wait_dscnt 0x0
	v_add_f32_e32 v105, v105, v107
	ds_bpermute_b32 v107, v136, v106
	v_cndmask_b32_e64 v106, -v106, v106, s34
	s_wait_dscnt 0x0
	s_delay_alu instid0(VALU_DEP_1) | instskip(SKIP_3) | instid1(VALU_DEP_1)
	v_add_f32_e32 v106, v106, v107
	ds_bpermute_b32 v107, v138, v105
	v_cndmask_b32_e64 v105, -v105, v105, s35
	s_wait_dscnt 0x0
	;; [unrolled: 9-line block ×3, first 2 shown]
	v_add_f32_e32 v105, v105, v107
	ds_bpermute_b32 v107, v121, v106
	v_cndmask_b32_e64 v106, -v106, v106, s37
	s_wait_dscnt 0x0
	s_delay_alu instid0(VALU_DEP_1)
	v_add_f32_e32 v106, v106, v107
	ds_bpermute_b32 v107, v122, v105
	v_cndmask_b32_e64 v105, -v105, v105, s38
	ds_bpermute_b32 v108, v122, v106
	v_cndmask_b32_e64 v106, -v106, v106, s38
	s_wait_dscnt 0x0
	s_delay_alu instid0(VALU_DEP_1) | instskip(SKIP_4) | instid1(VALU_DEP_1)
	v_dual_add_f32 v105, v105, v107 :: v_dual_add_f32 v106, v106, v108
	v_sub_f32_e32 v107, v113, v114
	ds_bpermute_b32 v108, v140, v107
	v_cndmask_b32_e64 v107, -v107, v107, s36
	s_wait_dscnt 0x0
	v_add_f32_e32 v107, v107, v108
	ds_bpermute_b32 v108, v136, v107
	v_cndmask_b32_e64 v107, -v107, v107, s34
	s_wait_dscnt 0x0
	s_delay_alu instid0(VALU_DEP_1) | instskip(SKIP_3) | instid1(VALU_DEP_1)
	v_add_f32_e32 v107, v107, v108
	ds_bpermute_b32 v108, v138, v107
	v_cndmask_b32_e64 v107, -v107, v107, s35
	s_wait_dscnt 0x0
	v_add_f32_e32 v107, v107, v108
	ds_bpermute_b32 v108, v121, v107
	v_cndmask_b32_e64 v107, -v107, v107, s37
	s_wait_dscnt 0x0
	s_delay_alu instid0(VALU_DEP_1) | instskip(SKIP_3) | instid1(VALU_DEP_1)
	v_add_f32_e32 v107, v107, v108
	ds_bpermute_b32 v108, v122, v107
	v_cndmask_b32_e64 v107, -v107, v107, s38
	s_wait_dscnt 0x0
	v_dual_add_f32 v107, v107, v108 :: v_dual_sub_f32 v108, v109, v110
	ds_bpermute_b32 v109, v140, v108
	v_cndmask_b32_e64 v108, -v108, v108, s36
	s_wait_dscnt 0x0
	s_delay_alu instid0(VALU_DEP_1) | instskip(SKIP_3) | instid1(VALU_DEP_1)
	v_add_f32_e32 v108, v108, v109
	ds_bpermute_b32 v109, v136, v108
	v_cndmask_b32_e64 v108, -v108, v108, s34
	s_wait_dscnt 0x0
	v_add_f32_e32 v108, v108, v109
	ds_bpermute_b32 v109, v138, v108
	v_cndmask_b32_e64 v108, -v108, v108, s35
	s_wait_dscnt 0x0
	s_delay_alu instid0(VALU_DEP_1) | instskip(SKIP_3) | instid1(VALU_DEP_1)
	v_add_f32_e32 v108, v108, v109
	ds_bpermute_b32 v109, v121, v108
	v_cndmask_b32_e64 v108, -v108, v108, s37
	s_wait_dscnt 0x0
	v_add_f32_e32 v108, v108, v109
	ds_bpermute_b32 v109, v122, v108
	v_cndmask_b32_e64 v108, -v108, v108, s38
	s_wait_dscnt 0x0
	s_delay_alu instid0(VALU_DEP_1)
	v_add_f32_e32 v108, v108, v109
	v_add_f32_e32 v109, v112, v111
	v_sub_f32_e32 v111, v111, v112
	ds_bpermute_b32 v112, v140, v111
	v_cndmask_b32_e64 v111, -v111, v111, s36
	s_wait_dscnt 0x0
	s_delay_alu instid0(VALU_DEP_1) | instskip(SKIP_3) | instid1(VALU_DEP_1)
	v_add_f32_e32 v111, v111, v112
	ds_bpermute_b32 v112, v136, v111
	v_cndmask_b32_e64 v111, -v111, v111, s34
	s_wait_dscnt 0x0
	v_add_f32_e32 v111, v111, v112
	ds_bpermute_b32 v112, v138, v111
	v_cndmask_b32_e64 v111, -v111, v111, s35
	s_wait_dscnt 0x0
	s_delay_alu instid0(VALU_DEP_1) | instskip(SKIP_3) | instid1(VALU_DEP_1)
	v_add_f32_e32 v111, v111, v112
	ds_bpermute_b32 v112, v121, v111
	v_cndmask_b32_e64 v111, -v111, v111, s37
	s_wait_dscnt 0x0
	v_add_f32_e32 v111, v111, v112
	ds_bpermute_b32 v112, v122, v111
	v_cndmask_b32_e64 v111, -v111, v111, s38
	s_wait_dscnt 0x0
	s_delay_alu instid0(VALU_DEP_1) | instskip(SKIP_4) | instid1(VALU_DEP_1)
	v_add_f32_e32 v111, v111, v112
	v_sub_f32_e32 v112, v115, v116
	ds_bpermute_b32 v110, v140, v109
	v_cndmask_b32_e64 v109, -v109, v109, s36
	s_wait_dscnt 0x0
	v_dual_add_f32 v109, v109, v110 :: v_dual_add_f32 v110, v115, v116
	ds_bpermute_b32 v113, v140, v110
	v_cndmask_b32_e64 v110, -v110, v110, s36
	s_wait_dscnt 0x0
	s_delay_alu instid0(VALU_DEP_1) | instskip(SKIP_3) | instid1(VALU_DEP_1)
	v_add_f32_e32 v110, v110, v113
	ds_bpermute_b32 v113, v136, v109
	v_cndmask_b32_e64 v109, -v109, v109, s34
	s_wait_dscnt 0x0
	v_add_f32_e32 v109, v109, v113
	ds_bpermute_b32 v113, v136, v110
	v_cndmask_b32_e64 v110, -v110, v110, s34
	s_wait_dscnt 0x0
	s_delay_alu instid0(VALU_DEP_1) | instskip(SKIP_3) | instid1(VALU_DEP_1)
	v_add_f32_e32 v110, v110, v113
	ds_bpermute_b32 v113, v138, v109
	v_cndmask_b32_e64 v109, -v109, v109, s35
	s_wait_dscnt 0x0
	v_add_f32_e32 v109, v109, v113
	ds_bpermute_b32 v113, v138, v110
	v_cndmask_b32_e64 v110, -v110, v110, s35
	s_wait_dscnt 0x0
	s_delay_alu instid0(VALU_DEP_1) | instskip(SKIP_3) | instid1(VALU_DEP_1)
	v_add_f32_e32 v110, v110, v113
	ds_bpermute_b32 v113, v121, v109
	v_cndmask_b32_e64 v109, -v109, v109, s37
	s_wait_dscnt 0x0
	v_add_f32_e32 v109, v109, v113
	ds_bpermute_b32 v113, v121, v110
	v_cndmask_b32_e64 v110, -v110, v110, s37
	s_wait_dscnt 0x0
	s_delay_alu instid0(VALU_DEP_1)
	v_add_f32_e32 v110, v110, v113
	ds_bpermute_b32 v113, v122, v109
	v_cndmask_b32_e64 v109, -v109, v109, s38
	ds_bpermute_b32 v114, v122, v110
	v_cndmask_b32_e64 v110, -v110, v110, s38
	s_wait_dscnt 0x1
	v_add_f32_e32 v109, v109, v113
	ds_bpermute_b32 v113, v140, v112
	v_cndmask_b32_e64 v112, -v112, v112, s36
	s_wait_dscnt 0x1
	v_add_f32_e32 v110, v110, v114
	s_wait_dscnt 0x0
	s_delay_alu instid0(VALU_DEP_2) | instskip(SKIP_3) | instid1(VALU_DEP_1)
	v_add_f32_e32 v112, v112, v113
	ds_bpermute_b32 v113, v136, v112
	v_cndmask_b32_e64 v112, -v112, v112, s34
	s_wait_dscnt 0x0
	v_add_f32_e32 v112, v112, v113
	ds_bpermute_b32 v113, v138, v112
	v_cndmask_b32_e64 v112, -v112, v112, s35
	s_wait_dscnt 0x0
	s_delay_alu instid0(VALU_DEP_1) | instskip(SKIP_3) | instid1(VALU_DEP_1)
	v_add_f32_e32 v112, v112, v113
	ds_bpermute_b32 v113, v121, v112
	v_cndmask_b32_e64 v112, -v112, v112, s37
	s_wait_dscnt 0x0
	v_add_f32_e32 v112, v112, v113
	ds_bpermute_b32 v113, v122, v112
	v_cndmask_b32_e64 v112, -v112, v112, s38
	s_wait_dscnt 0x0
	s_delay_alu instid0(VALU_DEP_1)
	v_add_f32_e32 v112, v112, v113
	ds_store_b128 v134, v[105:108] offset:16384
	ds_store_b128 v134, v[109:112] offset:20480
	v_dual_add_f32 v105, v101, v102 :: v_dual_add_f32 v106, v103, v104
	v_dual_sub_f32 v101, v101, v102 :: v_dual_sub_f32 v102, v103, v104
	v_add_f32_e32 v103, v97, v98
	v_sub_f32_e32 v107, v97, v98
	s_delay_alu instid0(VALU_DEP_4) | instskip(SKIP_4) | instid1(VALU_DEP_1)
	v_dual_add_f32 v97, v106, v105 :: v_dual_add_f32 v104, v99, v100
	v_sub_f32_e32 v108, v99, v100
	ds_bpermute_b32 v98, v140, v97
	v_cndmask_b32_e64 v97, -v97, v97, s36
	s_wait_dscnt 0x0
	v_add_f32_e32 v97, v97, v98
	v_add_f32_e32 v98, v101, v102
	ds_bpermute_b32 v99, v140, v98
	v_cndmask_b32_e64 v98, -v98, v98, s36
	s_wait_dscnt 0x0
	s_delay_alu instid0(VALU_DEP_1) | instskip(SKIP_3) | instid1(VALU_DEP_1)
	v_add_f32_e32 v98, v98, v99
	ds_bpermute_b32 v99, v136, v97
	v_cndmask_b32_e64 v97, -v97, v97, s34
	s_wait_dscnt 0x0
	v_add_f32_e32 v97, v97, v99
	ds_bpermute_b32 v99, v136, v98
	v_cndmask_b32_e64 v98, -v98, v98, s34
	s_wait_dscnt 0x0
	s_delay_alu instid0(VALU_DEP_1) | instskip(SKIP_3) | instid1(VALU_DEP_1)
	v_add_f32_e32 v98, v98, v99
	ds_bpermute_b32 v99, v138, v97
	v_cndmask_b32_e64 v97, -v97, v97, s35
	s_wait_dscnt 0x0
	;; [unrolled: 9-line block ×3, first 2 shown]
	v_add_f32_e32 v97, v97, v99
	ds_bpermute_b32 v99, v121, v98
	v_cndmask_b32_e64 v98, -v98, v98, s37
	s_wait_dscnt 0x0
	s_delay_alu instid0(VALU_DEP_1)
	v_add_f32_e32 v98, v98, v99
	ds_bpermute_b32 v99, v122, v97
	v_cndmask_b32_e64 v97, -v97, v97, s38
	ds_bpermute_b32 v100, v122, v98
	v_cndmask_b32_e64 v98, -v98, v98, s38
	s_wait_dscnt 0x0
	s_delay_alu instid0(VALU_DEP_1) | instskip(SKIP_4) | instid1(VALU_DEP_1)
	v_dual_add_f32 v97, v97, v99 :: v_dual_add_f32 v98, v98, v100
	v_sub_f32_e32 v99, v105, v106
	ds_bpermute_b32 v100, v140, v99
	v_cndmask_b32_e64 v99, -v99, v99, s36
	s_wait_dscnt 0x0
	v_add_f32_e32 v99, v99, v100
	ds_bpermute_b32 v100, v136, v99
	v_cndmask_b32_e64 v99, -v99, v99, s34
	s_wait_dscnt 0x0
	s_delay_alu instid0(VALU_DEP_1) | instskip(SKIP_3) | instid1(VALU_DEP_1)
	v_add_f32_e32 v99, v99, v100
	ds_bpermute_b32 v100, v138, v99
	v_cndmask_b32_e64 v99, -v99, v99, s35
	s_wait_dscnt 0x0
	v_add_f32_e32 v99, v99, v100
	ds_bpermute_b32 v100, v121, v99
	v_cndmask_b32_e64 v99, -v99, v99, s37
	s_wait_dscnt 0x0
	s_delay_alu instid0(VALU_DEP_1) | instskip(SKIP_3) | instid1(VALU_DEP_1)
	v_add_f32_e32 v99, v99, v100
	ds_bpermute_b32 v100, v122, v99
	v_cndmask_b32_e64 v99, -v99, v99, s38
	s_wait_dscnt 0x0
	v_dual_add_f32 v99, v99, v100 :: v_dual_sub_f32 v100, v101, v102
	ds_bpermute_b32 v101, v140, v100
	v_cndmask_b32_e64 v100, -v100, v100, s36
	s_wait_dscnt 0x0
	s_delay_alu instid0(VALU_DEP_1) | instskip(SKIP_3) | instid1(VALU_DEP_1)
	v_add_f32_e32 v100, v100, v101
	ds_bpermute_b32 v101, v136, v100
	v_cndmask_b32_e64 v100, -v100, v100, s34
	s_wait_dscnt 0x0
	v_add_f32_e32 v100, v100, v101
	ds_bpermute_b32 v101, v138, v100
	v_cndmask_b32_e64 v100, -v100, v100, s35
	s_wait_dscnt 0x0
	s_delay_alu instid0(VALU_DEP_1) | instskip(SKIP_3) | instid1(VALU_DEP_1)
	v_add_f32_e32 v100, v100, v101
	ds_bpermute_b32 v101, v121, v100
	v_cndmask_b32_e64 v100, -v100, v100, s37
	s_wait_dscnt 0x0
	v_add_f32_e32 v100, v100, v101
	ds_bpermute_b32 v101, v122, v100
	v_cndmask_b32_e64 v100, -v100, v100, s38
	s_wait_dscnt 0x0
	s_delay_alu instid0(VALU_DEP_1)
	v_add_f32_e32 v100, v100, v101
	v_add_f32_e32 v101, v104, v103
	v_sub_f32_e32 v103, v103, v104
	ds_bpermute_b32 v104, v140, v103
	v_cndmask_b32_e64 v103, -v103, v103, s36
	s_wait_dscnt 0x0
	s_delay_alu instid0(VALU_DEP_1) | instskip(SKIP_3) | instid1(VALU_DEP_1)
	v_add_f32_e32 v103, v103, v104
	ds_bpermute_b32 v104, v136, v103
	v_cndmask_b32_e64 v103, -v103, v103, s34
	s_wait_dscnt 0x0
	v_add_f32_e32 v103, v103, v104
	ds_bpermute_b32 v104, v138, v103
	v_cndmask_b32_e64 v103, -v103, v103, s35
	s_wait_dscnt 0x0
	s_delay_alu instid0(VALU_DEP_1) | instskip(SKIP_3) | instid1(VALU_DEP_1)
	v_add_f32_e32 v103, v103, v104
	ds_bpermute_b32 v104, v121, v103
	v_cndmask_b32_e64 v103, -v103, v103, s37
	s_wait_dscnt 0x0
	v_add_f32_e32 v103, v103, v104
	ds_bpermute_b32 v104, v122, v103
	v_cndmask_b32_e64 v103, -v103, v103, s38
	s_wait_dscnt 0x0
	s_delay_alu instid0(VALU_DEP_1) | instskip(SKIP_4) | instid1(VALU_DEP_1)
	v_add_f32_e32 v103, v103, v104
	v_sub_f32_e32 v104, v107, v108
	ds_bpermute_b32 v102, v140, v101
	v_cndmask_b32_e64 v101, -v101, v101, s36
	s_wait_dscnt 0x0
	v_dual_add_f32 v101, v101, v102 :: v_dual_add_f32 v102, v107, v108
	ds_bpermute_b32 v105, v140, v102
	v_cndmask_b32_e64 v102, -v102, v102, s36
	s_wait_dscnt 0x0
	s_delay_alu instid0(VALU_DEP_1) | instskip(SKIP_3) | instid1(VALU_DEP_1)
	v_add_f32_e32 v102, v102, v105
	ds_bpermute_b32 v105, v136, v101
	v_cndmask_b32_e64 v101, -v101, v101, s34
	s_wait_dscnt 0x0
	v_add_f32_e32 v101, v101, v105
	ds_bpermute_b32 v105, v136, v102
	v_cndmask_b32_e64 v102, -v102, v102, s34
	s_wait_dscnt 0x0
	s_delay_alu instid0(VALU_DEP_1) | instskip(SKIP_3) | instid1(VALU_DEP_1)
	v_add_f32_e32 v102, v102, v105
	ds_bpermute_b32 v105, v138, v101
	v_cndmask_b32_e64 v101, -v101, v101, s35
	s_wait_dscnt 0x0
	v_add_f32_e32 v101, v101, v105
	;; [unrolled: 9-line block ×3, first 2 shown]
	ds_bpermute_b32 v105, v121, v102
	v_cndmask_b32_e64 v102, -v102, v102, s37
	s_wait_dscnt 0x0
	s_delay_alu instid0(VALU_DEP_1)
	v_add_f32_e32 v102, v102, v105
	ds_bpermute_b32 v105, v122, v101
	v_cndmask_b32_e64 v101, -v101, v101, s38
	ds_bpermute_b32 v106, v122, v102
	v_cndmask_b32_e64 v102, -v102, v102, s38
	s_wait_dscnt 0x1
	v_add_f32_e32 v101, v101, v105
	ds_bpermute_b32 v105, v140, v104
	v_cndmask_b32_e64 v104, -v104, v104, s36
	s_wait_dscnt 0x1
	v_add_f32_e32 v102, v102, v106
	s_wait_dscnt 0x0
	s_delay_alu instid0(VALU_DEP_2) | instskip(SKIP_3) | instid1(VALU_DEP_1)
	v_add_f32_e32 v104, v104, v105
	ds_bpermute_b32 v105, v136, v104
	v_cndmask_b32_e64 v104, -v104, v104, s34
	s_wait_dscnt 0x0
	v_add_f32_e32 v104, v104, v105
	ds_bpermute_b32 v105, v138, v104
	v_cndmask_b32_e64 v104, -v104, v104, s35
	s_wait_dscnt 0x0
	s_delay_alu instid0(VALU_DEP_1) | instskip(SKIP_3) | instid1(VALU_DEP_1)
	v_add_f32_e32 v104, v104, v105
	ds_bpermute_b32 v105, v121, v104
	v_cndmask_b32_e64 v104, -v104, v104, s37
	s_wait_dscnt 0x0
	v_add_f32_e32 v104, v104, v105
	ds_bpermute_b32 v105, v122, v104
	v_cndmask_b32_e64 v104, -v104, v104, s38
	s_wait_dscnt 0x0
	s_delay_alu instid0(VALU_DEP_1)
	v_add_f32_e32 v104, v104, v105
	ds_store_b128 v134, v[97:100] offset:24576
	ds_store_b128 v134, v[101:104] offset:28672
	v_dual_add_f32 v97, v93, v94 :: v_dual_add_f32 v98, v95, v96
	v_dual_sub_f32 v93, v93, v94 :: v_dual_sub_f32 v94, v95, v96
	v_dual_add_f32 v95, v89, v90 :: v_dual_add_f32 v96, v91, v92
	v_dual_sub_f32 v89, v89, v90 :: v_dual_sub_f32 v90, v91, v92
	s_delay_alu instid0(VALU_DEP_4)
	v_add_f32_e32 v91, v98, v97
	s_wait_loadcnt_dscnt 0x0
	s_barrier_signal -1
	s_barrier_wait -1
	global_inv scope:SCOPE_SE
	ds_bpermute_b32 v92, v140, v91
	v_cndmask_b32_e64 v91, -v91, v91, s36
	s_wait_dscnt 0x0
	s_delay_alu instid0(VALU_DEP_1) | instskip(SKIP_3) | instid1(VALU_DEP_1)
	v_dual_add_f32 v91, v91, v92 :: v_dual_add_f32 v92, v93, v94
	ds_bpermute_b32 v99, v140, v92
	v_cndmask_b32_e64 v92, -v92, v92, s36
	s_wait_dscnt 0x0
	v_add_f32_e32 v92, v92, v99
	ds_bpermute_b32 v99, v136, v91
	v_cndmask_b32_e64 v91, -v91, v91, s34
	s_wait_dscnt 0x0
	s_delay_alu instid0(VALU_DEP_1) | instskip(SKIP_3) | instid1(VALU_DEP_1)
	v_add_f32_e32 v91, v91, v99
	ds_bpermute_b32 v99, v136, v92
	v_cndmask_b32_e64 v92, -v92, v92, s34
	s_wait_dscnt 0x0
	v_add_f32_e32 v92, v92, v99
	ds_bpermute_b32 v99, v138, v91
	v_cndmask_b32_e64 v91, -v91, v91, s35
	s_wait_dscnt 0x0
	s_delay_alu instid0(VALU_DEP_1) | instskip(SKIP_3) | instid1(VALU_DEP_1)
	v_add_f32_e32 v91, v91, v99
	;; [unrolled: 9-line block ×3, first 2 shown]
	ds_bpermute_b32 v99, v121, v92
	v_cndmask_b32_e64 v92, -v92, v92, s37
	s_wait_dscnt 0x0
	v_add_f32_e32 v92, v92, v99
	ds_bpermute_b32 v99, v122, v91
	v_cndmask_b32_e64 v91, -v91, v91, s38
	ds_bpermute_b32 v100, v122, v92
	v_cndmask_b32_e64 v92, -v92, v92, s38
	s_wait_dscnt 0x1
	v_add_f32_e32 v123, v91, v99
	s_wait_dscnt 0x0
	s_delay_alu instid0(VALU_DEP_2) | instskip(SKIP_3) | instid1(VALU_DEP_1)
	v_dual_sub_f32 v91, v97, v98 :: v_dual_add_f32 v124, v92, v100
	ds_bpermute_b32 v92, v140, v91
	v_cndmask_b32_e64 v91, -v91, v91, s36
	s_wait_dscnt 0x0
	v_add_f32_e32 v91, v91, v92
	ds_bpermute_b32 v92, v136, v91
	v_cndmask_b32_e64 v91, -v91, v91, s34
	s_wait_dscnt 0x0
	s_delay_alu instid0(VALU_DEP_1) | instskip(SKIP_3) | instid1(VALU_DEP_1)
	v_add_f32_e32 v91, v91, v92
	ds_bpermute_b32 v92, v138, v91
	v_cndmask_b32_e64 v91, -v91, v91, s35
	s_wait_dscnt 0x0
	v_add_f32_e32 v91, v91, v92
	ds_bpermute_b32 v92, v121, v91
	v_cndmask_b32_e64 v91, -v91, v91, s37
	s_wait_dscnt 0x0
	s_delay_alu instid0(VALU_DEP_1) | instskip(SKIP_3) | instid1(VALU_DEP_1)
	v_add_f32_e32 v91, v91, v92
	ds_bpermute_b32 v92, v122, v91
	v_cndmask_b32_e64 v91, -v91, v91, s38
	s_wait_dscnt 0x0
	v_add_f32_e32 v125, v91, v92
	v_sub_f32_e32 v91, v93, v94
	ds_bpermute_b32 v92, v140, v91
	v_cndmask_b32_e64 v91, -v91, v91, s36
	s_wait_dscnt 0x0
	s_delay_alu instid0(VALU_DEP_1) | instskip(SKIP_3) | instid1(VALU_DEP_1)
	v_add_f32_e32 v91, v91, v92
	ds_bpermute_b32 v92, v136, v91
	v_cndmask_b32_e64 v91, -v91, v91, s34
	s_wait_dscnt 0x0
	v_add_f32_e32 v91, v91, v92
	ds_bpermute_b32 v92, v138, v91
	v_cndmask_b32_e64 v91, -v91, v91, s35
	s_wait_dscnt 0x0
	s_delay_alu instid0(VALU_DEP_1) | instskip(SKIP_3) | instid1(VALU_DEP_1)
	v_add_f32_e32 v91, v91, v92
	ds_bpermute_b32 v92, v121, v91
	v_cndmask_b32_e64 v91, -v91, v91, s37
	s_wait_dscnt 0x0
	v_add_f32_e32 v91, v91, v92
	ds_bpermute_b32 v92, v122, v91
	v_cndmask_b32_e64 v91, -v91, v91, s38
	s_wait_dscnt 0x0
	s_delay_alu instid0(VALU_DEP_1) | instskip(SKIP_3) | instid1(VALU_DEP_1)
	v_dual_add_f32 v126, v91, v92 :: v_dual_add_f32 v91, v96, v95
	ds_bpermute_b32 v92, v140, v91
	v_cndmask_b32_e64 v91, -v91, v91, s36
	s_wait_dscnt 0x0
	v_dual_add_f32 v91, v91, v92 :: v_dual_add_f32 v92, v89, v90
	v_sub_f32_e32 v89, v89, v90
	ds_bpermute_b32 v93, v140, v92
	v_cndmask_b32_e64 v92, -v92, v92, s36
	ds_bpermute_b32 v90, v140, v89
	v_cndmask_b32_e64 v89, -v89, v89, s36
	s_wait_dscnt 0x1
	v_add_f32_e32 v92, v92, v93
	ds_bpermute_b32 v93, v136, v91
	v_cndmask_b32_e64 v91, -v91, v91, s34
	s_wait_dscnt 0x1
	v_add_f32_e32 v89, v89, v90
	;; [unrolled: 4-line block ×8, first 2 shown]
	ds_bpermute_b32 v90, v122, v89
	s_wait_dscnt 0x1
	v_add_f32_e32 v92, v92, v93
	ds_bpermute_b32 v93, v121, v91
	v_cndmask_b32_e64 v91, -v91, v91, s37
	v_cndmask_b32_e64 v89, -v89, v89, s38
	s_wait_dscnt 0x1
	s_delay_alu instid0(VALU_DEP_1)
	v_dual_add_f32 v130, v89, v90 :: v_dual_and_b32 v89, 7, v0
	s_wait_dscnt 0x0
	v_add_f32_e32 v91, v91, v93
	ds_bpermute_b32 v93, v121, v92
	v_cndmask_b32_e64 v92, -v92, v92, s37
	v_lshrrev_b32_e32 v0, 3, v0
	s_delay_alu instid0(VALU_DEP_1) | instskip(NEXT) | instid1(VALU_DEP_1)
	v_lshl_or_b32 v0, v89, 5, v0
	v_xor_b32_e32 v0, v0, v89
	s_delay_alu instid0(VALU_DEP_1)
	v_lshl_add_u32 v142, v0, 4, 0
	v_add_f32_e32 v0, v85, v86
	s_wait_dscnt 0x0
	v_dual_sub_f32 v85, v85, v86 :: v_dual_add_f32 v92, v92, v93
	ds_bpermute_b32 v93, v122, v91
	v_cndmask_b32_e64 v91, -v91, v91, s38
	v_sub_f32_e32 v86, v87, v88
	ds_bpermute_b32 v94, v122, v92
	v_cndmask_b32_e64 v92, -v92, v92, s38
	s_wait_dscnt 0x1
	v_add_f32_e32 v127, v91, v93
	s_wait_dscnt 0x0
	s_delay_alu instid0(VALU_DEP_2) | instskip(SKIP_3) | instid1(VALU_DEP_1)
	v_dual_sub_f32 v91, v95, v96 :: v_dual_add_f32 v128, v92, v94
	ds_bpermute_b32 v92, v140, v91
	v_cndmask_b32_e64 v91, -v91, v91, s36
	s_wait_dscnt 0x0
	v_add_f32_e32 v91, v91, v92
	ds_bpermute_b32 v92, v136, v91
	v_cndmask_b32_e64 v91, -v91, v91, s34
	s_wait_dscnt 0x0
	s_delay_alu instid0(VALU_DEP_1) | instskip(SKIP_3) | instid1(VALU_DEP_1)
	v_add_f32_e32 v91, v91, v92
	ds_bpermute_b32 v92, v138, v91
	v_cndmask_b32_e64 v91, -v91, v91, s35
	s_wait_dscnt 0x0
	v_add_f32_e32 v91, v91, v92
	ds_bpermute_b32 v92, v121, v91
	v_cndmask_b32_e64 v91, -v91, v91, s37
	s_wait_dscnt 0x0
	s_delay_alu instid0(VALU_DEP_1) | instskip(SKIP_3) | instid1(VALU_DEP_1)
	v_add_f32_e32 v91, v91, v92
	ds_bpermute_b32 v92, v122, v91
	v_cndmask_b32_e64 v91, -v91, v91, s38
	s_wait_dscnt 0x0
	v_add_f32_e32 v129, v91, v92
	ds_load_b128 v[117:120], v142
	ds_load_b128 v[113:116], v142 offset:4096
	ds_load_b128 v[109:112], v142 offset:8192
	;; [unrolled: 1-line block ×7, first 2 shown]
	s_wait_loadcnt_dscnt 0x0
	s_barrier_signal -1
	s_barrier_wait -1
	global_inv scope:SCOPE_SE
	ds_store_b128 v134, v[123:126]
	ds_store_b128 v134, v[127:130] offset:4096
	v_dual_add_f32 v123, v87, v88 :: v_dual_sub_f32 v124, v81, v82
	v_sub_f32_e32 v125, v83, v84
	v_dual_add_f32 v87, v81, v82 :: v_dual_add_f32 v88, v83, v84
	s_delay_alu instid0(VALU_DEP_3) | instskip(SKIP_3) | instid1(VALU_DEP_1)
	v_dual_add_f32 v81, v123, v0 :: v_dual_sub_f32 v0, v0, v123
	ds_bpermute_b32 v82, v140, v81
	v_cndmask_b32_e64 v81, -v81, v81, s36
	s_wait_dscnt 0x0
	v_add_f32_e32 v81, v81, v82
	v_add_f32_e32 v82, v85, v86
	ds_bpermute_b32 v83, v140, v82
	v_cndmask_b32_e64 v82, -v82, v82, s36
	s_wait_dscnt 0x0
	s_delay_alu instid0(VALU_DEP_1) | instskip(SKIP_3) | instid1(VALU_DEP_1)
	v_add_f32_e32 v82, v82, v83
	ds_bpermute_b32 v83, v136, v81
	v_cndmask_b32_e64 v81, -v81, v81, s34
	s_wait_dscnt 0x0
	v_add_f32_e32 v81, v81, v83
	ds_bpermute_b32 v83, v136, v82
	v_cndmask_b32_e64 v82, -v82, v82, s34
	s_wait_dscnt 0x0
	s_delay_alu instid0(VALU_DEP_1) | instskip(SKIP_3) | instid1(VALU_DEP_1)
	v_add_f32_e32 v82, v82, v83
	ds_bpermute_b32 v83, v138, v81
	v_cndmask_b32_e64 v81, -v81, v81, s35
	s_wait_dscnt 0x0
	;; [unrolled: 9-line block ×3, first 2 shown]
	v_add_f32_e32 v81, v81, v83
	ds_bpermute_b32 v83, v121, v82
	v_cndmask_b32_e64 v82, -v82, v82, s37
	s_wait_dscnt 0x0
	s_delay_alu instid0(VALU_DEP_1)
	v_add_f32_e32 v82, v82, v83
	ds_bpermute_b32 v83, v122, v81
	v_cndmask_b32_e64 v81, -v81, v81, s38
	ds_bpermute_b32 v84, v122, v82
	v_cndmask_b32_e64 v82, -v82, v82, s38
	s_wait_dscnt 0x1
	v_add_f32_e32 v81, v81, v83
	ds_bpermute_b32 v83, v140, v0
	v_cndmask_b32_e64 v0, -v0, v0, s36
	s_wait_dscnt 0x1
	v_add_f32_e32 v82, v82, v84
	s_wait_dscnt 0x0
	s_delay_alu instid0(VALU_DEP_2) | instskip(SKIP_3) | instid1(VALU_DEP_1)
	v_add_f32_e32 v0, v0, v83
	ds_bpermute_b32 v83, v136, v0
	v_cndmask_b32_e64 v0, -v0, v0, s34
	s_wait_dscnt 0x0
	v_add_f32_e32 v0, v0, v83
	ds_bpermute_b32 v83, v138, v0
	v_cndmask_b32_e64 v0, -v0, v0, s35
	s_wait_dscnt 0x0
	s_delay_alu instid0(VALU_DEP_1) | instskip(SKIP_3) | instid1(VALU_DEP_1)
	v_add_f32_e32 v0, v0, v83
	ds_bpermute_b32 v83, v121, v0
	v_cndmask_b32_e64 v0, -v0, v0, s37
	s_wait_dscnt 0x0
	v_add_f32_e32 v0, v0, v83
	ds_bpermute_b32 v83, v122, v0
	v_cndmask_b32_e64 v0, -v0, v0, s38
	s_wait_dscnt 0x0
	s_delay_alu instid0(VALU_DEP_1) | instskip(SKIP_3) | instid1(VALU_DEP_1)
	v_dual_add_f32 v83, v0, v83 :: v_dual_sub_f32 v0, v85, v86
	ds_bpermute_b32 v84, v140, v0
	v_cndmask_b32_e64 v0, -v0, v0, s36
	s_wait_dscnt 0x0
	v_add_f32_e32 v0, v0, v84
	ds_bpermute_b32 v84, v136, v0
	v_cndmask_b32_e64 v0, -v0, v0, s34
	s_wait_dscnt 0x0
	s_delay_alu instid0(VALU_DEP_1) | instskip(SKIP_3) | instid1(VALU_DEP_1)
	v_add_f32_e32 v0, v0, v84
	ds_bpermute_b32 v84, v138, v0
	v_cndmask_b32_e64 v0, -v0, v0, s35
	s_wait_dscnt 0x0
	v_add_f32_e32 v0, v0, v84
	ds_bpermute_b32 v84, v121, v0
	v_cndmask_b32_e64 v0, -v0, v0, s37
	s_wait_dscnt 0x0
	s_delay_alu instid0(VALU_DEP_1) | instskip(SKIP_3) | instid1(VALU_DEP_1)
	v_add_f32_e32 v0, v0, v84
	ds_bpermute_b32 v84, v122, v0
	v_cndmask_b32_e64 v0, -v0, v0, s38
	s_wait_dscnt 0x0
	v_add_f32_e32 v84, v0, v84
	v_add_f32_e32 v0, v88, v87
	ds_bpermute_b32 v85, v140, v0
	v_cndmask_b32_e64 v0, -v0, v0, s36
	s_wait_dscnt 0x0
	s_delay_alu instid0(VALU_DEP_1) | instskip(SKIP_4) | instid1(VALU_DEP_1)
	v_add_f32_e32 v0, v0, v85
	v_add_f32_e32 v85, v124, v125
	ds_bpermute_b32 v86, v140, v85
	v_cndmask_b32_e64 v85, -v85, v85, s36
	s_wait_dscnt 0x0
	v_add_f32_e32 v85, v85, v86
	ds_bpermute_b32 v86, v136, v0
	v_cndmask_b32_e64 v0, -v0, v0, s34
	s_wait_dscnt 0x0
	s_delay_alu instid0(VALU_DEP_1) | instskip(SKIP_3) | instid1(VALU_DEP_1)
	v_add_f32_e32 v0, v0, v86
	ds_bpermute_b32 v86, v136, v85
	v_cndmask_b32_e64 v85, -v85, v85, s34
	s_wait_dscnt 0x0
	v_add_f32_e32 v85, v85, v86
	ds_bpermute_b32 v86, v138, v0
	v_cndmask_b32_e64 v0, -v0, v0, s35
	s_wait_dscnt 0x0
	s_delay_alu instid0(VALU_DEP_1) | instskip(SKIP_3) | instid1(VALU_DEP_1)
	;; [unrolled: 9-line block ×3, first 2 shown]
	v_add_f32_e32 v0, v0, v86
	ds_bpermute_b32 v86, v121, v85
	v_cndmask_b32_e64 v85, -v85, v85, s37
	s_wait_dscnt 0x0
	v_add_f32_e32 v85, v85, v86
	ds_bpermute_b32 v86, v122, v0
	v_cndmask_b32_e64 v0, -v0, v0, s38
	ds_bpermute_b32 v123, v122, v85
	v_cndmask_b32_e64 v126, -v85, v85, s38
	s_wait_dscnt 0x1
	v_dual_add_f32 v85, v0, v86 :: v_dual_sub_f32 v0, v87, v88
	s_wait_dscnt 0x0
	s_delay_alu instid0(VALU_DEP_2) | instskip(SKIP_3) | instid1(VALU_DEP_1)
	v_add_f32_e32 v86, v126, v123
	ds_bpermute_b32 v87, v140, v0
	v_cndmask_b32_e64 v0, -v0, v0, s36
	s_wait_dscnt 0x0
	v_add_f32_e32 v0, v0, v87
	ds_bpermute_b32 v87, v136, v0
	v_cndmask_b32_e64 v0, -v0, v0, s34
	s_wait_dscnt 0x0
	s_delay_alu instid0(VALU_DEP_1) | instskip(SKIP_3) | instid1(VALU_DEP_1)
	v_add_f32_e32 v0, v0, v87
	ds_bpermute_b32 v87, v138, v0
	v_cndmask_b32_e64 v0, -v0, v0, s35
	s_wait_dscnt 0x0
	v_add_f32_e32 v0, v0, v87
	ds_bpermute_b32 v87, v121, v0
	v_cndmask_b32_e64 v0, -v0, v0, s37
	s_wait_dscnt 0x0
	s_delay_alu instid0(VALU_DEP_1) | instskip(SKIP_3) | instid1(VALU_DEP_1)
	v_add_f32_e32 v0, v0, v87
	ds_bpermute_b32 v87, v122, v0
	v_cndmask_b32_e64 v0, -v0, v0, s38
	s_wait_dscnt 0x0
	v_add_f32_e32 v87, v0, v87
	v_sub_f32_e32 v0, v124, v125
	ds_bpermute_b32 v88, v140, v0
	v_cndmask_b32_e64 v0, -v0, v0, s36
	s_wait_dscnt 0x0
	s_delay_alu instid0(VALU_DEP_1) | instskip(SKIP_3) | instid1(VALU_DEP_1)
	v_add_f32_e32 v0, v0, v88
	ds_bpermute_b32 v88, v136, v0
	v_cndmask_b32_e64 v0, -v0, v0, s34
	s_wait_dscnt 0x0
	v_add_f32_e32 v0, v0, v88
	ds_bpermute_b32 v88, v138, v0
	v_cndmask_b32_e64 v0, -v0, v0, s35
	s_wait_dscnt 0x0
	s_delay_alu instid0(VALU_DEP_1) | instskip(SKIP_3) | instid1(VALU_DEP_1)
	v_add_f32_e32 v0, v0, v88
	ds_bpermute_b32 v88, v121, v0
	v_cndmask_b32_e64 v0, -v0, v0, s37
	s_wait_dscnt 0x0
	v_add_f32_e32 v0, v0, v88
	ds_bpermute_b32 v88, v122, v0
	v_cndmask_b32_e64 v0, -v0, v0, s38
	s_wait_dscnt 0x0
	s_delay_alu instid0(VALU_DEP_1)
	v_add_f32_e32 v88, v0, v88
	v_add_f32_e32 v0, v77, v78
	ds_store_b128 v134, v[81:84] offset:8192
	ds_store_b128 v134, v[85:88] offset:12288
	v_dual_sub_f32 v77, v77, v78 :: v_dual_sub_f32 v78, v79, v80
	v_add_f32_e32 v81, v79, v80
	v_add_f32_e32 v79, v73, v74
	v_sub_f32_e32 v82, v73, v74
	v_add_f32_e32 v80, v75, v76
	s_delay_alu instid0(VALU_DEP_4) | instskip(SKIP_3) | instid1(VALU_DEP_1)
	v_add_f32_e32 v73, v81, v0
	ds_bpermute_b32 v74, v140, v73
	v_cndmask_b32_e64 v73, -v73, v73, s36
	s_wait_dscnt 0x0
	v_add_f32_e32 v73, v73, v74
	v_dual_add_f32 v74, v77, v78 :: v_dual_sub_f32 v83, v75, v76
	v_sub_f32_e32 v0, v0, v81
	ds_bpermute_b32 v75, v140, v74
	v_cndmask_b32_e64 v74, -v74, v74, s36
	s_wait_dscnt 0x0
	s_delay_alu instid0(VALU_DEP_1) | instskip(SKIP_3) | instid1(VALU_DEP_1)
	v_add_f32_e32 v74, v74, v75
	ds_bpermute_b32 v75, v136, v73
	v_cndmask_b32_e64 v73, -v73, v73, s34
	s_wait_dscnt 0x0
	v_add_f32_e32 v73, v73, v75
	ds_bpermute_b32 v75, v136, v74
	v_cndmask_b32_e64 v74, -v74, v74, s34
	s_wait_dscnt 0x0
	s_delay_alu instid0(VALU_DEP_1) | instskip(SKIP_3) | instid1(VALU_DEP_1)
	v_add_f32_e32 v74, v74, v75
	ds_bpermute_b32 v75, v138, v73
	v_cndmask_b32_e64 v73, -v73, v73, s35
	s_wait_dscnt 0x0
	v_add_f32_e32 v73, v73, v75
	;; [unrolled: 9-line block ×3, first 2 shown]
	ds_bpermute_b32 v75, v121, v74
	v_cndmask_b32_e64 v74, -v74, v74, s37
	s_wait_dscnt 0x0
	s_delay_alu instid0(VALU_DEP_1)
	v_add_f32_e32 v74, v74, v75
	ds_bpermute_b32 v75, v122, v73
	v_cndmask_b32_e64 v73, -v73, v73, s38
	ds_bpermute_b32 v76, v122, v74
	v_cndmask_b32_e64 v74, -v74, v74, s38
	s_wait_dscnt 0x1
	v_add_f32_e32 v73, v73, v75
	ds_bpermute_b32 v75, v140, v0
	v_cndmask_b32_e64 v0, -v0, v0, s36
	s_wait_dscnt 0x1
	v_add_f32_e32 v74, v74, v76
	s_wait_dscnt 0x0
	s_delay_alu instid0(VALU_DEP_2) | instskip(SKIP_3) | instid1(VALU_DEP_1)
	v_add_f32_e32 v0, v0, v75
	ds_bpermute_b32 v75, v136, v0
	v_cndmask_b32_e64 v0, -v0, v0, s34
	s_wait_dscnt 0x0
	v_add_f32_e32 v0, v0, v75
	ds_bpermute_b32 v75, v138, v0
	v_cndmask_b32_e64 v0, -v0, v0, s35
	s_wait_dscnt 0x0
	s_delay_alu instid0(VALU_DEP_1) | instskip(SKIP_3) | instid1(VALU_DEP_1)
	v_add_f32_e32 v0, v0, v75
	ds_bpermute_b32 v75, v121, v0
	v_cndmask_b32_e64 v0, -v0, v0, s37
	s_wait_dscnt 0x0
	v_add_f32_e32 v0, v0, v75
	ds_bpermute_b32 v75, v122, v0
	v_cndmask_b32_e64 v0, -v0, v0, s38
	s_wait_dscnt 0x0
	s_delay_alu instid0(VALU_DEP_1) | instskip(SKIP_3) | instid1(VALU_DEP_1)
	v_dual_add_f32 v75, v0, v75 :: v_dual_sub_f32 v0, v77, v78
	ds_bpermute_b32 v76, v140, v0
	v_cndmask_b32_e64 v0, -v0, v0, s36
	s_wait_dscnt 0x0
	v_add_f32_e32 v0, v0, v76
	ds_bpermute_b32 v76, v136, v0
	v_cndmask_b32_e64 v0, -v0, v0, s34
	s_wait_dscnt 0x0
	s_delay_alu instid0(VALU_DEP_1) | instskip(SKIP_3) | instid1(VALU_DEP_1)
	v_add_f32_e32 v0, v0, v76
	ds_bpermute_b32 v76, v138, v0
	v_cndmask_b32_e64 v0, -v0, v0, s35
	s_wait_dscnt 0x0
	v_add_f32_e32 v0, v0, v76
	ds_bpermute_b32 v76, v121, v0
	v_cndmask_b32_e64 v0, -v0, v0, s37
	s_wait_dscnt 0x0
	s_delay_alu instid0(VALU_DEP_1) | instskip(SKIP_3) | instid1(VALU_DEP_1)
	v_add_f32_e32 v0, v0, v76
	ds_bpermute_b32 v76, v122, v0
	v_cndmask_b32_e64 v0, -v0, v0, s38
	s_wait_dscnt 0x0
	v_add_f32_e32 v76, v0, v76
	v_add_f32_e32 v0, v80, v79
	ds_bpermute_b32 v77, v140, v0
	v_cndmask_b32_e64 v0, -v0, v0, s36
	s_wait_dscnt 0x0
	s_delay_alu instid0(VALU_DEP_1) | instskip(SKIP_3) | instid1(VALU_DEP_1)
	v_dual_add_f32 v0, v0, v77 :: v_dual_add_f32 v77, v82, v83
	ds_bpermute_b32 v78, v140, v77
	v_cndmask_b32_e64 v77, -v77, v77, s36
	s_wait_dscnt 0x0
	v_add_f32_e32 v77, v77, v78
	ds_bpermute_b32 v78, v136, v0
	v_cndmask_b32_e64 v0, -v0, v0, s34
	s_wait_dscnt 0x0
	s_delay_alu instid0(VALU_DEP_1) | instskip(SKIP_3) | instid1(VALU_DEP_1)
	v_add_f32_e32 v0, v0, v78
	ds_bpermute_b32 v78, v136, v77
	v_cndmask_b32_e64 v77, -v77, v77, s34
	s_wait_dscnt 0x0
	v_add_f32_e32 v77, v77, v78
	ds_bpermute_b32 v78, v138, v0
	v_cndmask_b32_e64 v0, -v0, v0, s35
	s_wait_dscnt 0x0
	s_delay_alu instid0(VALU_DEP_1) | instskip(SKIP_3) | instid1(VALU_DEP_1)
	v_add_f32_e32 v0, v0, v78
	;; [unrolled: 9-line block ×3, first 2 shown]
	ds_bpermute_b32 v78, v121, v77
	v_cndmask_b32_e64 v77, -v77, v77, s37
	s_wait_dscnt 0x0
	v_add_f32_e32 v77, v77, v78
	ds_bpermute_b32 v78, v122, v0
	v_cndmask_b32_e64 v0, -v0, v0, s38
	ds_bpermute_b32 v81, v122, v77
	v_cndmask_b32_e64 v84, -v77, v77, s38
	s_wait_dscnt 0x1
	v_dual_add_f32 v77, v0, v78 :: v_dual_sub_f32 v0, v79, v80
	s_wait_dscnt 0x0
	s_delay_alu instid0(VALU_DEP_2) | instskip(SKIP_3) | instid1(VALU_DEP_1)
	v_add_f32_e32 v78, v84, v81
	ds_bpermute_b32 v79, v140, v0
	v_cndmask_b32_e64 v0, -v0, v0, s36
	s_wait_dscnt 0x0
	v_add_f32_e32 v0, v0, v79
	ds_bpermute_b32 v79, v136, v0
	v_cndmask_b32_e64 v0, -v0, v0, s34
	s_wait_dscnt 0x0
	s_delay_alu instid0(VALU_DEP_1) | instskip(SKIP_3) | instid1(VALU_DEP_1)
	v_add_f32_e32 v0, v0, v79
	ds_bpermute_b32 v79, v138, v0
	v_cndmask_b32_e64 v0, -v0, v0, s35
	s_wait_dscnt 0x0
	v_add_f32_e32 v0, v0, v79
	ds_bpermute_b32 v79, v121, v0
	v_cndmask_b32_e64 v0, -v0, v0, s37
	s_wait_dscnt 0x0
	s_delay_alu instid0(VALU_DEP_1) | instskip(SKIP_3) | instid1(VALU_DEP_1)
	v_add_f32_e32 v0, v0, v79
	ds_bpermute_b32 v79, v122, v0
	v_cndmask_b32_e64 v0, -v0, v0, s38
	s_wait_dscnt 0x0
	v_add_f32_e32 v79, v0, v79
	v_sub_f32_e32 v0, v82, v83
	ds_bpermute_b32 v80, v140, v0
	v_cndmask_b32_e64 v0, -v0, v0, s36
	s_wait_dscnt 0x0
	s_delay_alu instid0(VALU_DEP_1) | instskip(SKIP_3) | instid1(VALU_DEP_1)
	v_add_f32_e32 v0, v0, v80
	ds_bpermute_b32 v80, v136, v0
	v_cndmask_b32_e64 v0, -v0, v0, s34
	s_wait_dscnt 0x0
	v_add_f32_e32 v0, v0, v80
	ds_bpermute_b32 v80, v138, v0
	v_cndmask_b32_e64 v0, -v0, v0, s35
	s_wait_dscnt 0x0
	s_delay_alu instid0(VALU_DEP_1) | instskip(SKIP_3) | instid1(VALU_DEP_1)
	v_add_f32_e32 v0, v0, v80
	ds_bpermute_b32 v80, v121, v0
	v_cndmask_b32_e64 v0, -v0, v0, s37
	s_wait_dscnt 0x0
	v_add_f32_e32 v0, v0, v80
	ds_bpermute_b32 v80, v122, v0
	v_cndmask_b32_e64 v0, -v0, v0, s38
	s_wait_dscnt 0x0
	s_delay_alu instid0(VALU_DEP_1)
	v_add_f32_e32 v80, v0, v80
	v_add_f32_e32 v0, v69, v70
	v_sub_f32_e32 v69, v69, v70
	ds_store_b128 v134, v[73:76] offset:16384
	ds_store_b128 v134, v[77:80] offset:20480
	v_add_f32_e32 v73, v71, v72
	v_dual_sub_f32 v70, v71, v72 :: v_dual_add_f32 v71, v65, v66
	v_sub_f32_e32 v74, v65, v66
	v_add_f32_e32 v72, v67, v68
	s_delay_alu instid0(VALU_DEP_4) | instskip(SKIP_4) | instid1(VALU_DEP_1)
	v_add_f32_e32 v65, v73, v0
	v_dual_sub_f32 v75, v67, v68 :: v_dual_sub_f32 v0, v0, v73
	ds_bpermute_b32 v66, v140, v65
	v_cndmask_b32_e64 v65, -v65, v65, s36
	s_wait_dscnt 0x0
	v_add_f32_e32 v65, v65, v66
	v_add_f32_e32 v66, v69, v70
	ds_bpermute_b32 v67, v140, v66
	v_cndmask_b32_e64 v66, -v66, v66, s36
	s_wait_dscnt 0x0
	s_delay_alu instid0(VALU_DEP_1) | instskip(SKIP_3) | instid1(VALU_DEP_1)
	v_add_f32_e32 v66, v66, v67
	ds_bpermute_b32 v67, v136, v65
	v_cndmask_b32_e64 v65, -v65, v65, s34
	s_wait_dscnt 0x0
	v_add_f32_e32 v65, v65, v67
	ds_bpermute_b32 v67, v136, v66
	v_cndmask_b32_e64 v66, -v66, v66, s34
	s_wait_dscnt 0x0
	s_delay_alu instid0(VALU_DEP_1) | instskip(SKIP_3) | instid1(VALU_DEP_1)
	v_add_f32_e32 v66, v66, v67
	ds_bpermute_b32 v67, v138, v65
	v_cndmask_b32_e64 v65, -v65, v65, s35
	s_wait_dscnt 0x0
	;; [unrolled: 9-line block ×3, first 2 shown]
	v_add_f32_e32 v65, v65, v67
	ds_bpermute_b32 v67, v121, v66
	v_cndmask_b32_e64 v66, -v66, v66, s37
	s_wait_dscnt 0x0
	s_delay_alu instid0(VALU_DEP_1)
	v_add_f32_e32 v66, v66, v67
	ds_bpermute_b32 v67, v122, v65
	v_cndmask_b32_e64 v65, -v65, v65, s38
	ds_bpermute_b32 v68, v122, v66
	v_cndmask_b32_e64 v66, -v66, v66, s38
	s_wait_dscnt 0x1
	v_add_f32_e32 v65, v65, v67
	ds_bpermute_b32 v67, v140, v0
	v_cndmask_b32_e64 v0, -v0, v0, s36
	s_wait_dscnt 0x1
	v_add_f32_e32 v66, v66, v68
	s_wait_dscnt 0x0
	s_delay_alu instid0(VALU_DEP_2) | instskip(SKIP_3) | instid1(VALU_DEP_1)
	v_add_f32_e32 v0, v0, v67
	ds_bpermute_b32 v67, v136, v0
	v_cndmask_b32_e64 v0, -v0, v0, s34
	s_wait_dscnt 0x0
	v_add_f32_e32 v0, v0, v67
	ds_bpermute_b32 v67, v138, v0
	v_cndmask_b32_e64 v0, -v0, v0, s35
	s_wait_dscnt 0x0
	s_delay_alu instid0(VALU_DEP_1) | instskip(SKIP_3) | instid1(VALU_DEP_1)
	v_add_f32_e32 v0, v0, v67
	ds_bpermute_b32 v67, v121, v0
	v_cndmask_b32_e64 v0, -v0, v0, s37
	s_wait_dscnt 0x0
	v_add_f32_e32 v0, v0, v67
	ds_bpermute_b32 v67, v122, v0
	v_cndmask_b32_e64 v0, -v0, v0, s38
	s_wait_dscnt 0x0
	s_delay_alu instid0(VALU_DEP_1) | instskip(SKIP_3) | instid1(VALU_DEP_1)
	v_dual_add_f32 v67, v0, v67 :: v_dual_sub_f32 v0, v69, v70
	ds_bpermute_b32 v68, v140, v0
	v_cndmask_b32_e64 v0, -v0, v0, s36
	s_wait_dscnt 0x0
	v_add_f32_e32 v0, v0, v68
	ds_bpermute_b32 v68, v136, v0
	v_cndmask_b32_e64 v0, -v0, v0, s34
	s_wait_dscnt 0x0
	s_delay_alu instid0(VALU_DEP_1) | instskip(SKIP_3) | instid1(VALU_DEP_1)
	v_add_f32_e32 v0, v0, v68
	ds_bpermute_b32 v68, v138, v0
	v_cndmask_b32_e64 v0, -v0, v0, s35
	s_wait_dscnt 0x0
	v_add_f32_e32 v0, v0, v68
	ds_bpermute_b32 v68, v121, v0
	v_cndmask_b32_e64 v0, -v0, v0, s37
	s_wait_dscnt 0x0
	s_delay_alu instid0(VALU_DEP_1) | instskip(SKIP_3) | instid1(VALU_DEP_1)
	v_add_f32_e32 v0, v0, v68
	ds_bpermute_b32 v68, v122, v0
	v_cndmask_b32_e64 v0, -v0, v0, s38
	s_wait_dscnt 0x0
	v_add_f32_e32 v68, v0, v68
	v_add_f32_e32 v0, v72, v71
	ds_bpermute_b32 v69, v140, v0
	v_cndmask_b32_e64 v0, -v0, v0, s36
	s_wait_dscnt 0x0
	s_delay_alu instid0(VALU_DEP_1) | instskip(SKIP_3) | instid1(VALU_DEP_1)
	v_dual_add_f32 v0, v0, v69 :: v_dual_add_f32 v69, v74, v75
	ds_bpermute_b32 v70, v140, v69
	v_cndmask_b32_e64 v69, -v69, v69, s36
	s_wait_dscnt 0x0
	v_add_f32_e32 v69, v69, v70
	ds_bpermute_b32 v70, v136, v0
	v_cndmask_b32_e64 v0, -v0, v0, s34
	s_wait_dscnt 0x0
	s_delay_alu instid0(VALU_DEP_1) | instskip(SKIP_3) | instid1(VALU_DEP_1)
	v_add_f32_e32 v0, v0, v70
	ds_bpermute_b32 v70, v136, v69
	v_cndmask_b32_e64 v69, -v69, v69, s34
	s_wait_dscnt 0x0
	v_add_f32_e32 v69, v69, v70
	ds_bpermute_b32 v70, v138, v0
	v_cndmask_b32_e64 v0, -v0, v0, s35
	s_wait_dscnt 0x0
	s_delay_alu instid0(VALU_DEP_1) | instskip(SKIP_3) | instid1(VALU_DEP_1)
	v_add_f32_e32 v0, v0, v70
	;; [unrolled: 9-line block ×3, first 2 shown]
	ds_bpermute_b32 v70, v121, v69
	v_cndmask_b32_e64 v69, -v69, v69, s37
	s_wait_dscnt 0x0
	v_add_f32_e32 v69, v69, v70
	ds_bpermute_b32 v70, v122, v0
	v_cndmask_b32_e64 v0, -v0, v0, s38
	ds_bpermute_b32 v73, v122, v69
	v_cndmask_b32_e64 v76, -v69, v69, s38
	s_wait_dscnt 0x1
	v_dual_add_f32 v69, v0, v70 :: v_dual_sub_f32 v0, v71, v72
	ds_bpermute_b32 v71, v140, v0
	v_cndmask_b32_e64 v0, -v0, v0, s36
	s_wait_dscnt 0x0
	s_delay_alu instid0(VALU_DEP_1) | instskip(SKIP_3) | instid1(VALU_DEP_1)
	v_add_f32_e32 v0, v0, v71
	ds_bpermute_b32 v71, v136, v0
	v_cndmask_b32_e64 v0, -v0, v0, s34
	s_wait_dscnt 0x0
	v_add_f32_e32 v0, v0, v71
	ds_bpermute_b32 v71, v138, v0
	v_cndmask_b32_e64 v0, -v0, v0, s35
	s_wait_dscnt 0x0
	s_delay_alu instid0(VALU_DEP_1) | instskip(SKIP_3) | instid1(VALU_DEP_1)
	v_add_f32_e32 v0, v0, v71
	ds_bpermute_b32 v71, v121, v0
	v_cndmask_b32_e64 v0, -v0, v0, s37
	s_wait_dscnt 0x0
	v_add_f32_e32 v0, v0, v71
	ds_bpermute_b32 v71, v122, v0
	v_cndmask_b32_e64 v0, -v0, v0, s38
	s_wait_dscnt 0x0
	s_delay_alu instid0(VALU_DEP_1) | instskip(SKIP_4) | instid1(VALU_DEP_1)
	v_add_f32_e32 v71, v0, v71
	v_sub_f32_e32 v0, v74, v75
	ds_bpermute_b32 v72, v140, v0
	v_cndmask_b32_e64 v0, -v0, v0, s36
	s_wait_dscnt 0x0
	v_add_f32_e32 v0, v0, v72
	ds_bpermute_b32 v72, v136, v0
	v_cndmask_b32_e64 v0, -v0, v0, s34
	s_wait_dscnt 0x0
	s_delay_alu instid0(VALU_DEP_1) | instskip(SKIP_3) | instid1(VALU_DEP_1)
	v_add_f32_e32 v0, v0, v72
	ds_bpermute_b32 v72, v138, v0
	v_cndmask_b32_e64 v0, -v0, v0, s35
	s_wait_dscnt 0x0
	v_add_f32_e32 v0, v0, v72
	ds_bpermute_b32 v72, v121, v0
	v_cndmask_b32_e64 v0, -v0, v0, s37
	s_wait_dscnt 0x0
	s_delay_alu instid0(VALU_DEP_1) | instskip(SKIP_3) | instid1(VALU_DEP_1)
	v_add_f32_e32 v0, v0, v72
	ds_bpermute_b32 v72, v122, v0
	v_cndmask_b32_e64 v0, -v0, v0, s38
	s_wait_dscnt 0x0
	v_add_f32_e32 v72, v0, v72
	v_add_f32_e32 v0, v61, v62
	;; [unrolled: 1-line block ×3, first 2 shown]
	ds_store_b128 v134, v[65:68] offset:24576
	ds_store_b128 v134, v[69:72] offset:28672
	v_add_f32_e32 v65, v63, v64
	v_dual_sub_f32 v61, v61, v62 :: v_dual_sub_f32 v62, v63, v64
	v_dual_add_f32 v63, v57, v58 :: v_dual_add_f32 v64, v59, v60
	v_dual_sub_f32 v57, v57, v58 :: v_dual_sub_f32 v58, v59, v60
	s_delay_alu instid0(VALU_DEP_4)
	v_dual_add_f32 v59, v65, v0 :: v_dual_sub_f32 v0, v0, v65
	s_wait_loadcnt_dscnt 0x0
	s_barrier_signal -1
	s_barrier_wait -1
	ds_bpermute_b32 v60, v140, v59
	v_cndmask_b32_e64 v59, -v59, v59, s36
	s_wait_dscnt 0x0
	global_inv scope:SCOPE_SE
	v_dual_add_f32 v59, v59, v60 :: v_dual_add_f32 v60, v61, v62
	ds_bpermute_b32 v66, v140, v60
	v_cndmask_b32_e64 v60, -v60, v60, s36
	s_wait_dscnt 0x0
	s_delay_alu instid0(VALU_DEP_1) | instskip(SKIP_3) | instid1(VALU_DEP_1)
	v_add_f32_e32 v60, v60, v66
	ds_bpermute_b32 v66, v136, v59
	v_cndmask_b32_e64 v59, -v59, v59, s34
	s_wait_dscnt 0x0
	v_add_f32_e32 v59, v59, v66
	ds_bpermute_b32 v66, v136, v60
	v_cndmask_b32_e64 v60, -v60, v60, s34
	s_wait_dscnt 0x0
	s_delay_alu instid0(VALU_DEP_1) | instskip(SKIP_3) | instid1(VALU_DEP_1)
	v_add_f32_e32 v60, v60, v66
	ds_bpermute_b32 v66, v138, v59
	v_cndmask_b32_e64 v59, -v59, v59, s35
	s_wait_dscnt 0x0
	v_add_f32_e32 v59, v59, v66
	;; [unrolled: 9-line block ×3, first 2 shown]
	ds_bpermute_b32 v66, v121, v60
	v_cndmask_b32_e64 v60, -v60, v60, s37
	s_wait_dscnt 0x0
	s_delay_alu instid0(VALU_DEP_1)
	v_add_f32_e32 v60, v60, v66
	ds_bpermute_b32 v66, v122, v59
	v_cndmask_b32_e64 v59, -v59, v59, s38
	ds_bpermute_b32 v67, v122, v60
	v_cndmask_b32_e64 v60, -v60, v60, s38
	s_wait_dscnt 0x1
	v_add_f32_e32 v123, v59, v66
	ds_bpermute_b32 v59, v140, v0
	v_cndmask_b32_e64 v0, -v0, v0, s36
	s_wait_dscnt 0x1
	v_add_f32_e32 v124, v60, v67
	s_wait_dscnt 0x0
	s_delay_alu instid0(VALU_DEP_2) | instskip(SKIP_3) | instid1(VALU_DEP_1)
	v_add_f32_e32 v0, v0, v59
	ds_bpermute_b32 v59, v136, v0
	v_cndmask_b32_e64 v0, -v0, v0, s34
	s_wait_dscnt 0x0
	v_add_f32_e32 v0, v0, v59
	ds_bpermute_b32 v59, v138, v0
	v_cndmask_b32_e64 v0, -v0, v0, s35
	s_wait_dscnt 0x0
	s_delay_alu instid0(VALU_DEP_1) | instskip(SKIP_3) | instid1(VALU_DEP_1)
	v_add_f32_e32 v0, v0, v59
	ds_bpermute_b32 v59, v121, v0
	v_cndmask_b32_e64 v0, -v0, v0, s37
	s_wait_dscnt 0x0
	v_add_f32_e32 v0, v0, v59
	ds_bpermute_b32 v59, v122, v0
	v_cndmask_b32_e64 v0, -v0, v0, s38
	s_wait_dscnt 0x0
	s_delay_alu instid0(VALU_DEP_1) | instskip(SKIP_3) | instid1(VALU_DEP_1)
	v_dual_add_f32 v125, v0, v59 :: v_dual_sub_f32 v0, v61, v62
	ds_bpermute_b32 v59, v140, v0
	v_cndmask_b32_e64 v0, -v0, v0, s36
	s_wait_dscnt 0x0
	v_add_f32_e32 v0, v0, v59
	ds_bpermute_b32 v59, v136, v0
	v_cndmask_b32_e64 v0, -v0, v0, s34
	s_wait_dscnt 0x0
	s_delay_alu instid0(VALU_DEP_1) | instskip(SKIP_3) | instid1(VALU_DEP_1)
	v_add_f32_e32 v0, v0, v59
	ds_bpermute_b32 v59, v138, v0
	v_cndmask_b32_e64 v0, -v0, v0, s35
	s_wait_dscnt 0x0
	v_add_f32_e32 v0, v0, v59
	ds_bpermute_b32 v59, v121, v0
	v_cndmask_b32_e64 v0, -v0, v0, s37
	s_wait_dscnt 0x0
	s_delay_alu instid0(VALU_DEP_1) | instskip(SKIP_3) | instid1(VALU_DEP_1)
	v_add_f32_e32 v0, v0, v59
	ds_bpermute_b32 v59, v122, v0
	v_cndmask_b32_e64 v0, -v0, v0, s38
	s_wait_dscnt 0x0
	v_add_f32_e32 v126, v0, v59
	v_add_f32_e32 v0, v64, v63
	ds_bpermute_b32 v59, v140, v0
	v_cndmask_b32_e64 v0, -v0, v0, s36
	s_wait_dscnt 0x0
	s_delay_alu instid0(VALU_DEP_1) | instskip(SKIP_3) | instid1(VALU_DEP_1)
	v_dual_add_f32 v0, v0, v59 :: v_dual_add_f32 v59, v57, v58
	ds_bpermute_b32 v60, v140, v59
	v_cndmask_b32_e64 v59, -v59, v59, s36
	s_wait_dscnt 0x0
	v_add_f32_e32 v59, v59, v60
	ds_bpermute_b32 v60, v136, v0
	v_cndmask_b32_e64 v0, -v0, v0, s34
	s_wait_dscnt 0x0
	s_delay_alu instid0(VALU_DEP_1) | instskip(SKIP_3) | instid1(VALU_DEP_1)
	v_add_f32_e32 v0, v0, v60
	ds_bpermute_b32 v60, v136, v59
	v_cndmask_b32_e64 v59, -v59, v59, s34
	s_wait_dscnt 0x0
	v_add_f32_e32 v59, v59, v60
	ds_bpermute_b32 v60, v138, v0
	v_cndmask_b32_e64 v0, -v0, v0, s35
	s_wait_dscnt 0x0
	s_delay_alu instid0(VALU_DEP_1) | instskip(SKIP_3) | instid1(VALU_DEP_1)
	v_add_f32_e32 v0, v0, v60
	;; [unrolled: 9-line block ×3, first 2 shown]
	ds_bpermute_b32 v60, v121, v59
	v_cndmask_b32_e64 v59, -v59, v59, s37
	s_wait_dscnt 0x0
	v_add_f32_e32 v59, v59, v60
	ds_bpermute_b32 v60, v122, v0
	v_cndmask_b32_e64 v0, -v0, v0, s38
	ds_bpermute_b32 v61, v122, v59
	v_cndmask_b32_e64 v59, -v59, v59, s38
	s_wait_dscnt 0x1
	v_add_f32_e32 v127, v0, v60
	v_sub_f32_e32 v0, v63, v64
	s_wait_dscnt 0x0
	v_add_f32_e32 v128, v59, v61
	ds_bpermute_b32 v59, v140, v0
	v_cndmask_b32_e64 v0, -v0, v0, s36
	s_wait_dscnt 0x0
	s_delay_alu instid0(VALU_DEP_1) | instskip(SKIP_3) | instid1(VALU_DEP_1)
	v_add_f32_e32 v0, v0, v59
	ds_bpermute_b32 v59, v136, v0
	v_cndmask_b32_e64 v0, -v0, v0, s34
	s_wait_dscnt 0x0
	v_add_f32_e32 v0, v0, v59
	ds_bpermute_b32 v59, v138, v0
	v_cndmask_b32_e64 v0, -v0, v0, s35
	s_wait_dscnt 0x0
	s_delay_alu instid0(VALU_DEP_1) | instskip(SKIP_3) | instid1(VALU_DEP_1)
	v_add_f32_e32 v0, v0, v59
	ds_bpermute_b32 v59, v121, v0
	v_cndmask_b32_e64 v0, -v0, v0, s37
	s_wait_dscnt 0x0
	v_add_f32_e32 v0, v0, v59
	ds_bpermute_b32 v59, v122, v0
	v_cndmask_b32_e64 v0, -v0, v0, s38
	s_wait_dscnt 0x0
	s_delay_alu instid0(VALU_DEP_1) | instskip(SKIP_3) | instid1(VALU_DEP_1)
	v_dual_add_f32 v129, v0, v59 :: v_dual_sub_f32 v0, v57, v58
	ds_bpermute_b32 v57, v140, v0
	v_cndmask_b32_e64 v0, -v0, v0, s36
	s_wait_dscnt 0x0
	v_add_f32_e32 v0, v0, v57
	ds_bpermute_b32 v57, v136, v0
	v_cndmask_b32_e64 v0, -v0, v0, s34
	s_wait_dscnt 0x0
	s_delay_alu instid0(VALU_DEP_1) | instskip(SKIP_3) | instid1(VALU_DEP_1)
	v_add_f32_e32 v0, v0, v57
	ds_bpermute_b32 v57, v138, v0
	v_cndmask_b32_e64 v0, -v0, v0, s35
	s_wait_dscnt 0x0
	v_add_f32_e32 v0, v0, v57
	ds_bpermute_b32 v57, v121, v0
	v_cndmask_b32_e64 v0, -v0, v0, s37
	s_wait_dscnt 0x0
	s_delay_alu instid0(VALU_DEP_1) | instskip(SKIP_3) | instid1(VALU_DEP_1)
	v_add_f32_e32 v0, v0, v57
	ds_bpermute_b32 v57, v122, v0
	v_cndmask_b32_e64 v0, -v0, v0, s38
	s_wait_dscnt 0x0
	v_add_f32_e32 v130, v0, v57
	ds_load_b128 v[85:88], v142
	ds_load_b128 v[81:84], v142 offset:4096
	ds_load_b128 v[77:80], v142 offset:8192
	;; [unrolled: 1-line block ×7, first 2 shown]
	s_wait_loadcnt_dscnt 0x0
	s_barrier_signal -1
	s_barrier_wait -1
	global_inv scope:SCOPE_SE
	ds_store_b128 v134, v[123:126]
	ds_store_b128 v134, v[127:130] offset:4096
	v_dual_add_f32 v0, v53, v54 :: v_dual_add_f32 v123, v55, v56
	v_dual_sub_f32 v53, v53, v54 :: v_dual_sub_f32 v54, v55, v56
	v_add_f32_e32 v55, v49, v50
	s_delay_alu instid0(VALU_DEP_3)
	v_dual_sub_f32 v124, v49, v50 :: v_dual_add_f32 v49, v123, v0
	v_add_f32_e32 v56, v51, v52
	v_dual_sub_f32 v125, v51, v52 :: v_dual_sub_f32 v0, v0, v123
	ds_bpermute_b32 v50, v140, v49
	v_cndmask_b32_e64 v49, -v49, v49, s36
	s_wait_dscnt 0x0
	s_delay_alu instid0(VALU_DEP_1) | instskip(SKIP_4) | instid1(VALU_DEP_1)
	v_add_f32_e32 v49, v49, v50
	v_add_f32_e32 v50, v53, v54
	ds_bpermute_b32 v51, v140, v50
	v_cndmask_b32_e64 v50, -v50, v50, s36
	s_wait_dscnt 0x0
	v_add_f32_e32 v50, v50, v51
	ds_bpermute_b32 v51, v136, v49
	v_cndmask_b32_e64 v49, -v49, v49, s34
	s_wait_dscnt 0x0
	s_delay_alu instid0(VALU_DEP_1) | instskip(SKIP_3) | instid1(VALU_DEP_1)
	v_add_f32_e32 v49, v49, v51
	ds_bpermute_b32 v51, v136, v50
	v_cndmask_b32_e64 v50, -v50, v50, s34
	s_wait_dscnt 0x0
	v_add_f32_e32 v50, v50, v51
	ds_bpermute_b32 v51, v138, v49
	v_cndmask_b32_e64 v49, -v49, v49, s35
	s_wait_dscnt 0x0
	s_delay_alu instid0(VALU_DEP_1) | instskip(SKIP_3) | instid1(VALU_DEP_1)
	;; [unrolled: 9-line block ×3, first 2 shown]
	v_add_f32_e32 v49, v49, v51
	ds_bpermute_b32 v51, v121, v50
	v_cndmask_b32_e64 v50, -v50, v50, s37
	s_wait_dscnt 0x0
	v_add_f32_e32 v50, v50, v51
	ds_bpermute_b32 v51, v122, v49
	v_cndmask_b32_e64 v49, -v49, v49, s38
	ds_bpermute_b32 v52, v122, v50
	v_cndmask_b32_e64 v50, -v50, v50, s38
	s_wait_dscnt 0x1
	v_add_f32_e32 v49, v49, v51
	ds_bpermute_b32 v51, v140, v0
	v_cndmask_b32_e64 v0, -v0, v0, s36
	s_wait_dscnt 0x1
	v_add_f32_e32 v50, v50, v52
	s_wait_dscnt 0x0
	s_delay_alu instid0(VALU_DEP_2) | instskip(SKIP_3) | instid1(VALU_DEP_1)
	v_add_f32_e32 v0, v0, v51
	ds_bpermute_b32 v51, v136, v0
	v_cndmask_b32_e64 v0, -v0, v0, s34
	s_wait_dscnt 0x0
	v_add_f32_e32 v0, v0, v51
	ds_bpermute_b32 v51, v138, v0
	v_cndmask_b32_e64 v0, -v0, v0, s35
	s_wait_dscnt 0x0
	s_delay_alu instid0(VALU_DEP_1) | instskip(SKIP_3) | instid1(VALU_DEP_1)
	v_add_f32_e32 v0, v0, v51
	ds_bpermute_b32 v51, v121, v0
	v_cndmask_b32_e64 v0, -v0, v0, s37
	s_wait_dscnt 0x0
	v_add_f32_e32 v0, v0, v51
	ds_bpermute_b32 v51, v122, v0
	v_cndmask_b32_e64 v0, -v0, v0, s38
	s_wait_dscnt 0x0
	s_delay_alu instid0(VALU_DEP_1) | instskip(SKIP_3) | instid1(VALU_DEP_1)
	v_dual_add_f32 v51, v0, v51 :: v_dual_sub_f32 v0, v53, v54
	ds_bpermute_b32 v52, v140, v0
	v_cndmask_b32_e64 v0, -v0, v0, s36
	s_wait_dscnt 0x0
	v_add_f32_e32 v0, v0, v52
	ds_bpermute_b32 v52, v136, v0
	v_cndmask_b32_e64 v0, -v0, v0, s34
	s_wait_dscnt 0x0
	s_delay_alu instid0(VALU_DEP_1) | instskip(SKIP_3) | instid1(VALU_DEP_1)
	v_add_f32_e32 v0, v0, v52
	ds_bpermute_b32 v52, v138, v0
	v_cndmask_b32_e64 v0, -v0, v0, s35
	s_wait_dscnt 0x0
	v_add_f32_e32 v0, v0, v52
	ds_bpermute_b32 v52, v121, v0
	v_cndmask_b32_e64 v0, -v0, v0, s37
	s_wait_dscnt 0x0
	s_delay_alu instid0(VALU_DEP_1) | instskip(SKIP_3) | instid1(VALU_DEP_1)
	v_add_f32_e32 v0, v0, v52
	ds_bpermute_b32 v52, v122, v0
	v_cndmask_b32_e64 v0, -v0, v0, s38
	s_wait_dscnt 0x0
	v_add_f32_e32 v52, v0, v52
	v_add_f32_e32 v0, v56, v55
	ds_bpermute_b32 v53, v140, v0
	v_cndmask_b32_e64 v0, -v0, v0, s36
	s_wait_dscnt 0x0
	s_delay_alu instid0(VALU_DEP_1) | instskip(SKIP_4) | instid1(VALU_DEP_1)
	v_add_f32_e32 v0, v0, v53
	v_add_f32_e32 v53, v124, v125
	ds_bpermute_b32 v54, v140, v53
	v_cndmask_b32_e64 v53, -v53, v53, s36
	s_wait_dscnt 0x0
	v_add_f32_e32 v53, v53, v54
	ds_bpermute_b32 v54, v136, v0
	v_cndmask_b32_e64 v0, -v0, v0, s34
	s_wait_dscnt 0x0
	s_delay_alu instid0(VALU_DEP_1) | instskip(SKIP_3) | instid1(VALU_DEP_1)
	v_add_f32_e32 v0, v0, v54
	ds_bpermute_b32 v54, v136, v53
	v_cndmask_b32_e64 v53, -v53, v53, s34
	s_wait_dscnt 0x0
	v_add_f32_e32 v53, v53, v54
	ds_bpermute_b32 v54, v138, v0
	v_cndmask_b32_e64 v0, -v0, v0, s35
	s_wait_dscnt 0x0
	s_delay_alu instid0(VALU_DEP_1) | instskip(SKIP_3) | instid1(VALU_DEP_1)
	;; [unrolled: 9-line block ×3, first 2 shown]
	v_add_f32_e32 v0, v0, v54
	ds_bpermute_b32 v54, v121, v53
	v_cndmask_b32_e64 v53, -v53, v53, s37
	s_wait_dscnt 0x0
	v_add_f32_e32 v53, v53, v54
	ds_bpermute_b32 v54, v122, v0
	v_cndmask_b32_e64 v0, -v0, v0, s38
	ds_bpermute_b32 v123, v122, v53
	v_cndmask_b32_e64 v126, -v53, v53, s38
	s_wait_dscnt 0x1
	v_dual_add_f32 v53, v0, v54 :: v_dual_sub_f32 v0, v55, v56
	s_wait_dscnt 0x0
	s_delay_alu instid0(VALU_DEP_2) | instskip(SKIP_3) | instid1(VALU_DEP_1)
	v_add_f32_e32 v54, v126, v123
	ds_bpermute_b32 v55, v140, v0
	v_cndmask_b32_e64 v0, -v0, v0, s36
	s_wait_dscnt 0x0
	v_add_f32_e32 v0, v0, v55
	ds_bpermute_b32 v55, v136, v0
	v_cndmask_b32_e64 v0, -v0, v0, s34
	s_wait_dscnt 0x0
	s_delay_alu instid0(VALU_DEP_1) | instskip(SKIP_3) | instid1(VALU_DEP_1)
	v_add_f32_e32 v0, v0, v55
	ds_bpermute_b32 v55, v138, v0
	v_cndmask_b32_e64 v0, -v0, v0, s35
	s_wait_dscnt 0x0
	v_add_f32_e32 v0, v0, v55
	ds_bpermute_b32 v55, v121, v0
	v_cndmask_b32_e64 v0, -v0, v0, s37
	s_wait_dscnt 0x0
	s_delay_alu instid0(VALU_DEP_1) | instskip(SKIP_3) | instid1(VALU_DEP_1)
	v_add_f32_e32 v0, v0, v55
	ds_bpermute_b32 v55, v122, v0
	v_cndmask_b32_e64 v0, -v0, v0, s38
	s_wait_dscnt 0x0
	v_add_f32_e32 v55, v0, v55
	v_sub_f32_e32 v0, v124, v125
	ds_bpermute_b32 v56, v140, v0
	v_cndmask_b32_e64 v0, -v0, v0, s36
	s_wait_dscnt 0x0
	s_delay_alu instid0(VALU_DEP_1) | instskip(SKIP_3) | instid1(VALU_DEP_1)
	v_add_f32_e32 v0, v0, v56
	ds_bpermute_b32 v56, v136, v0
	v_cndmask_b32_e64 v0, -v0, v0, s34
	s_wait_dscnt 0x0
	v_add_f32_e32 v0, v0, v56
	ds_bpermute_b32 v56, v138, v0
	v_cndmask_b32_e64 v0, -v0, v0, s35
	s_wait_dscnt 0x0
	s_delay_alu instid0(VALU_DEP_1) | instskip(SKIP_3) | instid1(VALU_DEP_1)
	v_add_f32_e32 v0, v0, v56
	ds_bpermute_b32 v56, v121, v0
	v_cndmask_b32_e64 v0, -v0, v0, s37
	s_wait_dscnt 0x0
	v_add_f32_e32 v0, v0, v56
	ds_bpermute_b32 v56, v122, v0
	v_cndmask_b32_e64 v0, -v0, v0, s38
	s_wait_dscnt 0x0
	s_delay_alu instid0(VALU_DEP_1)
	v_add_f32_e32 v56, v0, v56
	ds_store_b128 v134, v[49:52] offset:8192
	ds_store_b128 v134, v[53:56] offset:12288
	v_dual_add_f32 v0, v45, v46 :: v_dual_add_f32 v49, v47, v48
	v_dual_sub_f32 v45, v45, v46 :: v_dual_sub_f32 v46, v47, v48
	v_add_f32_e32 v47, v41, v42
	v_sub_f32_e32 v50, v41, v42
	s_delay_alu instid0(VALU_DEP_4)
	v_add_f32_e32 v41, v49, v0
	v_add_f32_e32 v48, v43, v44
	v_dual_sub_f32 v51, v43, v44 :: v_dual_sub_f32 v0, v0, v49
	ds_bpermute_b32 v42, v140, v41
	v_cndmask_b32_e64 v41, -v41, v41, s36
	s_wait_dscnt 0x0
	s_delay_alu instid0(VALU_DEP_1) | instskip(SKIP_4) | instid1(VALU_DEP_1)
	v_add_f32_e32 v41, v41, v42
	v_add_f32_e32 v42, v45, v46
	ds_bpermute_b32 v43, v140, v42
	v_cndmask_b32_e64 v42, -v42, v42, s36
	s_wait_dscnt 0x0
	v_add_f32_e32 v42, v42, v43
	ds_bpermute_b32 v43, v136, v41
	v_cndmask_b32_e64 v41, -v41, v41, s34
	s_wait_dscnt 0x0
	s_delay_alu instid0(VALU_DEP_1) | instskip(SKIP_3) | instid1(VALU_DEP_1)
	v_add_f32_e32 v41, v41, v43
	ds_bpermute_b32 v43, v136, v42
	v_cndmask_b32_e64 v42, -v42, v42, s34
	s_wait_dscnt 0x0
	v_add_f32_e32 v42, v42, v43
	ds_bpermute_b32 v43, v138, v41
	v_cndmask_b32_e64 v41, -v41, v41, s35
	s_wait_dscnt 0x0
	s_delay_alu instid0(VALU_DEP_1) | instskip(SKIP_3) | instid1(VALU_DEP_1)
	;; [unrolled: 9-line block ×3, first 2 shown]
	v_add_f32_e32 v41, v41, v43
	ds_bpermute_b32 v43, v121, v42
	v_cndmask_b32_e64 v42, -v42, v42, s37
	s_wait_dscnt 0x0
	v_add_f32_e32 v42, v42, v43
	ds_bpermute_b32 v43, v122, v41
	v_cndmask_b32_e64 v41, -v41, v41, s38
	ds_bpermute_b32 v44, v122, v42
	v_cndmask_b32_e64 v42, -v42, v42, s38
	s_wait_dscnt 0x1
	v_add_f32_e32 v41, v41, v43
	ds_bpermute_b32 v43, v140, v0
	v_cndmask_b32_e64 v0, -v0, v0, s36
	s_wait_dscnt 0x1
	v_add_f32_e32 v42, v42, v44
	s_wait_dscnt 0x0
	s_delay_alu instid0(VALU_DEP_2) | instskip(SKIP_3) | instid1(VALU_DEP_1)
	v_add_f32_e32 v0, v0, v43
	ds_bpermute_b32 v43, v136, v0
	v_cndmask_b32_e64 v0, -v0, v0, s34
	s_wait_dscnt 0x0
	v_add_f32_e32 v0, v0, v43
	ds_bpermute_b32 v43, v138, v0
	v_cndmask_b32_e64 v0, -v0, v0, s35
	s_wait_dscnt 0x0
	s_delay_alu instid0(VALU_DEP_1) | instskip(SKIP_3) | instid1(VALU_DEP_1)
	v_add_f32_e32 v0, v0, v43
	ds_bpermute_b32 v43, v121, v0
	v_cndmask_b32_e64 v0, -v0, v0, s37
	s_wait_dscnt 0x0
	v_add_f32_e32 v0, v0, v43
	ds_bpermute_b32 v43, v122, v0
	v_cndmask_b32_e64 v0, -v0, v0, s38
	s_wait_dscnt 0x0
	s_delay_alu instid0(VALU_DEP_1) | instskip(SKIP_3) | instid1(VALU_DEP_1)
	v_dual_add_f32 v43, v0, v43 :: v_dual_sub_f32 v0, v45, v46
	ds_bpermute_b32 v44, v140, v0
	v_cndmask_b32_e64 v0, -v0, v0, s36
	s_wait_dscnt 0x0
	v_add_f32_e32 v0, v0, v44
	ds_bpermute_b32 v44, v136, v0
	v_cndmask_b32_e64 v0, -v0, v0, s34
	s_wait_dscnt 0x0
	s_delay_alu instid0(VALU_DEP_1) | instskip(SKIP_3) | instid1(VALU_DEP_1)
	v_add_f32_e32 v0, v0, v44
	ds_bpermute_b32 v44, v138, v0
	v_cndmask_b32_e64 v0, -v0, v0, s35
	s_wait_dscnt 0x0
	v_add_f32_e32 v0, v0, v44
	ds_bpermute_b32 v44, v121, v0
	v_cndmask_b32_e64 v0, -v0, v0, s37
	s_wait_dscnt 0x0
	s_delay_alu instid0(VALU_DEP_1) | instskip(SKIP_3) | instid1(VALU_DEP_1)
	v_add_f32_e32 v0, v0, v44
	ds_bpermute_b32 v44, v122, v0
	v_cndmask_b32_e64 v0, -v0, v0, s38
	s_wait_dscnt 0x0
	v_add_f32_e32 v44, v0, v44
	v_add_f32_e32 v0, v48, v47
	ds_bpermute_b32 v45, v140, v0
	v_cndmask_b32_e64 v0, -v0, v0, s36
	s_wait_dscnt 0x0
	s_delay_alu instid0(VALU_DEP_1) | instskip(SKIP_3) | instid1(VALU_DEP_1)
	v_dual_add_f32 v0, v0, v45 :: v_dual_add_f32 v45, v50, v51
	ds_bpermute_b32 v46, v140, v45
	v_cndmask_b32_e64 v45, -v45, v45, s36
	s_wait_dscnt 0x0
	v_add_f32_e32 v45, v45, v46
	ds_bpermute_b32 v46, v136, v0
	v_cndmask_b32_e64 v0, -v0, v0, s34
	s_wait_dscnt 0x0
	s_delay_alu instid0(VALU_DEP_1) | instskip(SKIP_3) | instid1(VALU_DEP_1)
	v_add_f32_e32 v0, v0, v46
	ds_bpermute_b32 v46, v136, v45
	v_cndmask_b32_e64 v45, -v45, v45, s34
	s_wait_dscnt 0x0
	v_add_f32_e32 v45, v45, v46
	ds_bpermute_b32 v46, v138, v0
	v_cndmask_b32_e64 v0, -v0, v0, s35
	s_wait_dscnt 0x0
	s_delay_alu instid0(VALU_DEP_1) | instskip(SKIP_3) | instid1(VALU_DEP_1)
	v_add_f32_e32 v0, v0, v46
	ds_bpermute_b32 v46, v138, v45
	v_cndmask_b32_e64 v45, -v45, v45, s35
	s_wait_dscnt 0x0
	v_add_f32_e32 v45, v45, v46
	ds_bpermute_b32 v46, v121, v0
	v_cndmask_b32_e64 v0, -v0, v0, s37
	s_wait_dscnt 0x0
	s_delay_alu instid0(VALU_DEP_1) | instskip(SKIP_3) | instid1(VALU_DEP_1)
	v_add_f32_e32 v0, v0, v46
	ds_bpermute_b32 v46, v121, v45
	v_cndmask_b32_e64 v45, -v45, v45, s37
	s_wait_dscnt 0x0
	v_add_f32_e32 v45, v45, v46
	ds_bpermute_b32 v46, v122, v0
	v_cndmask_b32_e64 v0, -v0, v0, s38
	ds_bpermute_b32 v49, v122, v45
	v_cndmask_b32_e64 v52, -v45, v45, s38
	s_wait_dscnt 0x1
	v_dual_add_f32 v45, v0, v46 :: v_dual_sub_f32 v0, v47, v48
	s_wait_dscnt 0x0
	s_delay_alu instid0(VALU_DEP_2) | instskip(SKIP_3) | instid1(VALU_DEP_1)
	v_add_f32_e32 v46, v52, v49
	ds_bpermute_b32 v47, v140, v0
	v_cndmask_b32_e64 v0, -v0, v0, s36
	s_wait_dscnt 0x0
	v_add_f32_e32 v0, v0, v47
	ds_bpermute_b32 v47, v136, v0
	v_cndmask_b32_e64 v0, -v0, v0, s34
	s_wait_dscnt 0x0
	s_delay_alu instid0(VALU_DEP_1) | instskip(SKIP_3) | instid1(VALU_DEP_1)
	v_add_f32_e32 v0, v0, v47
	ds_bpermute_b32 v47, v138, v0
	v_cndmask_b32_e64 v0, -v0, v0, s35
	s_wait_dscnt 0x0
	v_add_f32_e32 v0, v0, v47
	ds_bpermute_b32 v47, v121, v0
	v_cndmask_b32_e64 v0, -v0, v0, s37
	s_wait_dscnt 0x0
	s_delay_alu instid0(VALU_DEP_1) | instskip(SKIP_3) | instid1(VALU_DEP_1)
	v_add_f32_e32 v0, v0, v47
	ds_bpermute_b32 v47, v122, v0
	v_cndmask_b32_e64 v0, -v0, v0, s38
	s_wait_dscnt 0x0
	v_add_f32_e32 v47, v0, v47
	v_sub_f32_e32 v0, v50, v51
	ds_bpermute_b32 v48, v140, v0
	v_cndmask_b32_e64 v0, -v0, v0, s36
	s_wait_dscnt 0x0
	s_delay_alu instid0(VALU_DEP_1) | instskip(SKIP_3) | instid1(VALU_DEP_1)
	v_add_f32_e32 v0, v0, v48
	ds_bpermute_b32 v48, v136, v0
	v_cndmask_b32_e64 v0, -v0, v0, s34
	s_wait_dscnt 0x0
	v_add_f32_e32 v0, v0, v48
	ds_bpermute_b32 v48, v138, v0
	v_cndmask_b32_e64 v0, -v0, v0, s35
	s_wait_dscnt 0x0
	s_delay_alu instid0(VALU_DEP_1) | instskip(SKIP_3) | instid1(VALU_DEP_1)
	v_add_f32_e32 v0, v0, v48
	ds_bpermute_b32 v48, v121, v0
	v_cndmask_b32_e64 v0, -v0, v0, s37
	s_wait_dscnt 0x0
	v_add_f32_e32 v0, v0, v48
	ds_bpermute_b32 v48, v122, v0
	v_cndmask_b32_e64 v0, -v0, v0, s38
	s_wait_dscnt 0x0
	s_delay_alu instid0(VALU_DEP_1)
	v_add_f32_e32 v48, v0, v48
	ds_store_b128 v134, v[41:44] offset:16384
	ds_store_b128 v134, v[45:48] offset:20480
	v_dual_add_f32 v0, v37, v38 :: v_dual_add_f32 v41, v39, v40
	v_dual_sub_f32 v37, v37, v38 :: v_dual_sub_f32 v38, v39, v40
	v_add_f32_e32 v39, v33, v34
	v_sub_f32_e32 v42, v33, v34
	s_delay_alu instid0(VALU_DEP_4)
	v_add_f32_e32 v33, v41, v0
	v_add_f32_e32 v40, v35, v36
	v_dual_sub_f32 v43, v35, v36 :: v_dual_sub_f32 v0, v0, v41
	ds_bpermute_b32 v34, v140, v33
	v_cndmask_b32_e64 v33, -v33, v33, s36
	s_wait_dscnt 0x0
	s_delay_alu instid0(VALU_DEP_1) | instskip(SKIP_4) | instid1(VALU_DEP_1)
	v_add_f32_e32 v33, v33, v34
	v_add_f32_e32 v34, v37, v38
	ds_bpermute_b32 v35, v140, v34
	v_cndmask_b32_e64 v34, -v34, v34, s36
	s_wait_dscnt 0x0
	v_add_f32_e32 v34, v34, v35
	ds_bpermute_b32 v35, v136, v33
	v_cndmask_b32_e64 v33, -v33, v33, s34
	s_wait_dscnt 0x0
	s_delay_alu instid0(VALU_DEP_1) | instskip(SKIP_3) | instid1(VALU_DEP_1)
	v_add_f32_e32 v33, v33, v35
	ds_bpermute_b32 v35, v136, v34
	v_cndmask_b32_e64 v34, -v34, v34, s34
	s_wait_dscnt 0x0
	v_add_f32_e32 v34, v34, v35
	ds_bpermute_b32 v35, v138, v33
	v_cndmask_b32_e64 v33, -v33, v33, s35
	s_wait_dscnt 0x0
	s_delay_alu instid0(VALU_DEP_1) | instskip(SKIP_3) | instid1(VALU_DEP_1)
	v_add_f32_e32 v33, v33, v35
	ds_bpermute_b32 v35, v138, v34
	v_cndmask_b32_e64 v34, -v34, v34, s35
	s_wait_dscnt 0x0
	v_add_f32_e32 v34, v34, v35
	ds_bpermute_b32 v35, v121, v33
	v_cndmask_b32_e64 v33, -v33, v33, s37
	s_wait_dscnt 0x0
	s_delay_alu instid0(VALU_DEP_1) | instskip(SKIP_3) | instid1(VALU_DEP_1)
	v_add_f32_e32 v33, v33, v35
	ds_bpermute_b32 v35, v121, v34
	v_cndmask_b32_e64 v34, -v34, v34, s37
	s_wait_dscnt 0x0
	v_add_f32_e32 v34, v34, v35
	ds_bpermute_b32 v35, v122, v33
	v_cndmask_b32_e64 v33, -v33, v33, s38
	ds_bpermute_b32 v36, v122, v34
	v_cndmask_b32_e64 v34, -v34, v34, s38
	s_wait_dscnt 0x1
	v_add_f32_e32 v33, v33, v35
	ds_bpermute_b32 v35, v140, v0
	v_cndmask_b32_e64 v0, -v0, v0, s36
	s_wait_dscnt 0x1
	v_add_f32_e32 v34, v34, v36
	s_wait_dscnt 0x0
	s_delay_alu instid0(VALU_DEP_2) | instskip(SKIP_3) | instid1(VALU_DEP_1)
	v_add_f32_e32 v0, v0, v35
	ds_bpermute_b32 v35, v136, v0
	v_cndmask_b32_e64 v0, -v0, v0, s34
	s_wait_dscnt 0x0
	v_add_f32_e32 v0, v0, v35
	ds_bpermute_b32 v35, v138, v0
	v_cndmask_b32_e64 v0, -v0, v0, s35
	s_wait_dscnt 0x0
	s_delay_alu instid0(VALU_DEP_1) | instskip(SKIP_3) | instid1(VALU_DEP_1)
	v_add_f32_e32 v0, v0, v35
	ds_bpermute_b32 v35, v121, v0
	v_cndmask_b32_e64 v0, -v0, v0, s37
	s_wait_dscnt 0x0
	v_add_f32_e32 v0, v0, v35
	ds_bpermute_b32 v35, v122, v0
	v_cndmask_b32_e64 v0, -v0, v0, s38
	s_wait_dscnt 0x0
	s_delay_alu instid0(VALU_DEP_1) | instskip(SKIP_3) | instid1(VALU_DEP_1)
	v_dual_add_f32 v35, v0, v35 :: v_dual_sub_f32 v0, v37, v38
	ds_bpermute_b32 v36, v140, v0
	v_cndmask_b32_e64 v0, -v0, v0, s36
	s_wait_dscnt 0x0
	v_add_f32_e32 v0, v0, v36
	ds_bpermute_b32 v36, v136, v0
	v_cndmask_b32_e64 v0, -v0, v0, s34
	s_wait_dscnt 0x0
	s_delay_alu instid0(VALU_DEP_1) | instskip(SKIP_3) | instid1(VALU_DEP_1)
	v_add_f32_e32 v0, v0, v36
	ds_bpermute_b32 v36, v138, v0
	v_cndmask_b32_e64 v0, -v0, v0, s35
	s_wait_dscnt 0x0
	v_add_f32_e32 v0, v0, v36
	ds_bpermute_b32 v36, v121, v0
	v_cndmask_b32_e64 v0, -v0, v0, s37
	s_wait_dscnt 0x0
	s_delay_alu instid0(VALU_DEP_1) | instskip(SKIP_3) | instid1(VALU_DEP_1)
	v_add_f32_e32 v0, v0, v36
	ds_bpermute_b32 v36, v122, v0
	v_cndmask_b32_e64 v0, -v0, v0, s38
	s_wait_dscnt 0x0
	v_add_f32_e32 v36, v0, v36
	v_add_f32_e32 v0, v40, v39
	ds_bpermute_b32 v37, v140, v0
	v_cndmask_b32_e64 v0, -v0, v0, s36
	s_wait_dscnt 0x0
	s_delay_alu instid0(VALU_DEP_1) | instskip(SKIP_3) | instid1(VALU_DEP_1)
	v_dual_add_f32 v0, v0, v37 :: v_dual_add_f32 v37, v42, v43
	ds_bpermute_b32 v38, v140, v37
	v_cndmask_b32_e64 v37, -v37, v37, s36
	s_wait_dscnt 0x0
	v_add_f32_e32 v37, v37, v38
	ds_bpermute_b32 v38, v136, v0
	v_cndmask_b32_e64 v0, -v0, v0, s34
	s_wait_dscnt 0x0
	s_delay_alu instid0(VALU_DEP_1) | instskip(SKIP_3) | instid1(VALU_DEP_1)
	v_add_f32_e32 v0, v0, v38
	ds_bpermute_b32 v38, v136, v37
	v_cndmask_b32_e64 v37, -v37, v37, s34
	s_wait_dscnt 0x0
	v_add_f32_e32 v37, v37, v38
	ds_bpermute_b32 v38, v138, v0
	v_cndmask_b32_e64 v0, -v0, v0, s35
	s_wait_dscnt 0x0
	s_delay_alu instid0(VALU_DEP_1) | instskip(SKIP_3) | instid1(VALU_DEP_1)
	v_add_f32_e32 v0, v0, v38
	;; [unrolled: 9-line block ×3, first 2 shown]
	ds_bpermute_b32 v38, v121, v37
	v_cndmask_b32_e64 v37, -v37, v37, s37
	s_wait_dscnt 0x0
	v_add_f32_e32 v37, v37, v38
	ds_bpermute_b32 v38, v122, v0
	v_cndmask_b32_e64 v0, -v0, v0, s38
	ds_bpermute_b32 v41, v122, v37
	v_cndmask_b32_e64 v44, -v37, v37, s38
	s_wait_dscnt 0x1
	v_dual_add_f32 v37, v0, v38 :: v_dual_sub_f32 v0, v39, v40
	s_wait_dscnt 0x0
	s_delay_alu instid0(VALU_DEP_2) | instskip(SKIP_3) | instid1(VALU_DEP_1)
	v_add_f32_e32 v38, v44, v41
	ds_bpermute_b32 v39, v140, v0
	v_cndmask_b32_e64 v0, -v0, v0, s36
	s_wait_dscnt 0x0
	v_add_f32_e32 v0, v0, v39
	ds_bpermute_b32 v39, v136, v0
	v_cndmask_b32_e64 v0, -v0, v0, s34
	s_wait_dscnt 0x0
	s_delay_alu instid0(VALU_DEP_1) | instskip(SKIP_3) | instid1(VALU_DEP_1)
	v_add_f32_e32 v0, v0, v39
	ds_bpermute_b32 v39, v138, v0
	v_cndmask_b32_e64 v0, -v0, v0, s35
	s_wait_dscnt 0x0
	v_add_f32_e32 v0, v0, v39
	ds_bpermute_b32 v39, v121, v0
	v_cndmask_b32_e64 v0, -v0, v0, s37
	s_wait_dscnt 0x0
	s_delay_alu instid0(VALU_DEP_1) | instskip(SKIP_3) | instid1(VALU_DEP_1)
	v_add_f32_e32 v0, v0, v39
	ds_bpermute_b32 v39, v122, v0
	v_cndmask_b32_e64 v0, -v0, v0, s38
	s_wait_dscnt 0x0
	v_add_f32_e32 v39, v0, v39
	v_sub_f32_e32 v0, v42, v43
	ds_bpermute_b32 v40, v140, v0
	v_cndmask_b32_e64 v0, -v0, v0, s36
	s_wait_dscnt 0x0
	s_delay_alu instid0(VALU_DEP_1) | instskip(SKIP_3) | instid1(VALU_DEP_1)
	v_add_f32_e32 v0, v0, v40
	ds_bpermute_b32 v40, v136, v0
	v_cndmask_b32_e64 v0, -v0, v0, s34
	s_wait_dscnt 0x0
	v_add_f32_e32 v0, v0, v40
	ds_bpermute_b32 v40, v138, v0
	v_cndmask_b32_e64 v0, -v0, v0, s35
	s_wait_dscnt 0x0
	s_delay_alu instid0(VALU_DEP_1) | instskip(SKIP_3) | instid1(VALU_DEP_1)
	v_add_f32_e32 v0, v0, v40
	ds_bpermute_b32 v40, v121, v0
	v_cndmask_b32_e64 v0, -v0, v0, s37
	s_wait_dscnt 0x0
	v_add_f32_e32 v0, v0, v40
	ds_bpermute_b32 v40, v122, v0
	v_cndmask_b32_e64 v0, -v0, v0, s38
	s_wait_dscnt 0x0
	s_delay_alu instid0(VALU_DEP_1)
	v_add_f32_e32 v40, v0, v40
	ds_store_b128 v134, v[33:36] offset:24576
	ds_store_b128 v134, v[37:40] offset:28672
	v_dual_add_f32 v0, v29, v30 :: v_dual_add_f32 v33, v31, v32
	v_dual_sub_f32 v29, v29, v30 :: v_dual_sub_f32 v30, v31, v32
	v_dual_add_f32 v31, v25, v26 :: v_dual_add_f32 v32, v27, v28
	v_dual_sub_f32 v25, v25, v26 :: v_dual_sub_f32 v26, v27, v28
	s_delay_alu instid0(VALU_DEP_4)
	v_dual_add_f32 v27, v33, v0 :: v_dual_sub_f32 v0, v0, v33
	s_wait_loadcnt_dscnt 0x0
	s_barrier_signal -1
	s_barrier_wait -1
	ds_bpermute_b32 v28, v140, v27
	v_cndmask_b32_e64 v27, -v27, v27, s36
	s_wait_dscnt 0x0
	global_inv scope:SCOPE_SE
	v_dual_add_f32 v27, v27, v28 :: v_dual_add_f32 v28, v29, v30
	ds_bpermute_b32 v34, v140, v28
	v_cndmask_b32_e64 v28, -v28, v28, s36
	s_wait_dscnt 0x0
	s_delay_alu instid0(VALU_DEP_1) | instskip(SKIP_3) | instid1(VALU_DEP_1)
	v_add_f32_e32 v28, v28, v34
	ds_bpermute_b32 v34, v136, v27
	v_cndmask_b32_e64 v27, -v27, v27, s34
	s_wait_dscnt 0x0
	v_add_f32_e32 v27, v27, v34
	ds_bpermute_b32 v34, v136, v28
	v_cndmask_b32_e64 v28, -v28, v28, s34
	s_wait_dscnt 0x0
	s_delay_alu instid0(VALU_DEP_1) | instskip(SKIP_3) | instid1(VALU_DEP_1)
	v_add_f32_e32 v28, v28, v34
	ds_bpermute_b32 v34, v138, v27
	v_cndmask_b32_e64 v27, -v27, v27, s35
	s_wait_dscnt 0x0
	v_add_f32_e32 v27, v27, v34
	;; [unrolled: 9-line block ×3, first 2 shown]
	ds_bpermute_b32 v34, v121, v28
	v_cndmask_b32_e64 v28, -v28, v28, s37
	s_wait_dscnt 0x0
	s_delay_alu instid0(VALU_DEP_1)
	v_add_f32_e32 v28, v28, v34
	ds_bpermute_b32 v34, v122, v27
	v_cndmask_b32_e64 v27, -v27, v27, s38
	ds_bpermute_b32 v35, v122, v28
	v_cndmask_b32_e64 v28, -v28, v28, s38
	s_wait_dscnt 0x1
	v_add_f32_e32 v123, v27, v34
	ds_bpermute_b32 v27, v140, v0
	v_cndmask_b32_e64 v0, -v0, v0, s36
	s_wait_dscnt 0x1
	v_add_f32_e32 v124, v28, v35
	s_wait_dscnt 0x0
	s_delay_alu instid0(VALU_DEP_2) | instskip(SKIP_3) | instid1(VALU_DEP_1)
	v_add_f32_e32 v0, v0, v27
	ds_bpermute_b32 v27, v136, v0
	v_cndmask_b32_e64 v0, -v0, v0, s34
	s_wait_dscnt 0x0
	v_add_f32_e32 v0, v0, v27
	ds_bpermute_b32 v27, v138, v0
	v_cndmask_b32_e64 v0, -v0, v0, s35
	s_wait_dscnt 0x0
	s_delay_alu instid0(VALU_DEP_1) | instskip(SKIP_3) | instid1(VALU_DEP_1)
	v_add_f32_e32 v0, v0, v27
	ds_bpermute_b32 v27, v121, v0
	v_cndmask_b32_e64 v0, -v0, v0, s37
	s_wait_dscnt 0x0
	v_add_f32_e32 v0, v0, v27
	ds_bpermute_b32 v27, v122, v0
	v_cndmask_b32_e64 v0, -v0, v0, s38
	s_wait_dscnt 0x0
	s_delay_alu instid0(VALU_DEP_1) | instskip(SKIP_3) | instid1(VALU_DEP_1)
	v_dual_add_f32 v125, v0, v27 :: v_dual_sub_f32 v0, v29, v30
	ds_bpermute_b32 v27, v140, v0
	v_cndmask_b32_e64 v0, -v0, v0, s36
	s_wait_dscnt 0x0
	v_add_f32_e32 v0, v0, v27
	ds_bpermute_b32 v27, v136, v0
	v_cndmask_b32_e64 v0, -v0, v0, s34
	s_wait_dscnt 0x0
	s_delay_alu instid0(VALU_DEP_1) | instskip(SKIP_3) | instid1(VALU_DEP_1)
	v_add_f32_e32 v0, v0, v27
	ds_bpermute_b32 v27, v138, v0
	v_cndmask_b32_e64 v0, -v0, v0, s35
	s_wait_dscnt 0x0
	v_add_f32_e32 v0, v0, v27
	ds_bpermute_b32 v27, v121, v0
	v_cndmask_b32_e64 v0, -v0, v0, s37
	s_wait_dscnt 0x0
	s_delay_alu instid0(VALU_DEP_1) | instskip(SKIP_3) | instid1(VALU_DEP_1)
	v_add_f32_e32 v0, v0, v27
	ds_bpermute_b32 v27, v122, v0
	v_cndmask_b32_e64 v0, -v0, v0, s38
	s_wait_dscnt 0x0
	v_add_f32_e32 v126, v0, v27
	v_add_f32_e32 v0, v32, v31
	ds_bpermute_b32 v27, v140, v0
	v_cndmask_b32_e64 v0, -v0, v0, s36
	s_wait_dscnt 0x0
	s_delay_alu instid0(VALU_DEP_1) | instskip(SKIP_3) | instid1(VALU_DEP_1)
	v_dual_add_f32 v0, v0, v27 :: v_dual_add_f32 v27, v25, v26
	ds_bpermute_b32 v28, v140, v27
	v_cndmask_b32_e64 v27, -v27, v27, s36
	s_wait_dscnt 0x0
	v_add_f32_e32 v27, v27, v28
	ds_bpermute_b32 v28, v136, v0
	v_cndmask_b32_e64 v0, -v0, v0, s34
	s_wait_dscnt 0x0
	s_delay_alu instid0(VALU_DEP_1) | instskip(SKIP_3) | instid1(VALU_DEP_1)
	v_add_f32_e32 v0, v0, v28
	ds_bpermute_b32 v28, v136, v27
	v_cndmask_b32_e64 v27, -v27, v27, s34
	s_wait_dscnt 0x0
	v_add_f32_e32 v27, v27, v28
	ds_bpermute_b32 v28, v138, v0
	v_cndmask_b32_e64 v0, -v0, v0, s35
	s_wait_dscnt 0x0
	s_delay_alu instid0(VALU_DEP_1) | instskip(SKIP_3) | instid1(VALU_DEP_1)
	v_add_f32_e32 v0, v0, v28
	;; [unrolled: 9-line block ×3, first 2 shown]
	ds_bpermute_b32 v28, v121, v27
	v_cndmask_b32_e64 v27, -v27, v27, s37
	s_wait_dscnt 0x0
	v_add_f32_e32 v27, v27, v28
	ds_bpermute_b32 v28, v122, v0
	v_cndmask_b32_e64 v0, -v0, v0, s38
	ds_bpermute_b32 v29, v122, v27
	v_cndmask_b32_e64 v27, -v27, v27, s38
	s_wait_dscnt 0x1
	v_add_f32_e32 v127, v0, v28
	v_sub_f32_e32 v0, v31, v32
	s_wait_dscnt 0x0
	v_add_f32_e32 v128, v27, v29
	ds_bpermute_b32 v27, v140, v0
	v_cndmask_b32_e64 v0, -v0, v0, s36
	s_wait_dscnt 0x0
	s_delay_alu instid0(VALU_DEP_1) | instskip(SKIP_3) | instid1(VALU_DEP_1)
	v_add_f32_e32 v0, v0, v27
	ds_bpermute_b32 v27, v136, v0
	v_cndmask_b32_e64 v0, -v0, v0, s34
	s_wait_dscnt 0x0
	v_add_f32_e32 v0, v0, v27
	ds_bpermute_b32 v27, v138, v0
	v_cndmask_b32_e64 v0, -v0, v0, s35
	s_wait_dscnt 0x0
	s_delay_alu instid0(VALU_DEP_1) | instskip(SKIP_3) | instid1(VALU_DEP_1)
	v_add_f32_e32 v0, v0, v27
	ds_bpermute_b32 v27, v121, v0
	v_cndmask_b32_e64 v0, -v0, v0, s37
	s_wait_dscnt 0x0
	v_add_f32_e32 v0, v0, v27
	ds_bpermute_b32 v27, v122, v0
	v_cndmask_b32_e64 v0, -v0, v0, s38
	s_wait_dscnt 0x0
	s_delay_alu instid0(VALU_DEP_1) | instskip(SKIP_3) | instid1(VALU_DEP_1)
	v_dual_add_f32 v129, v0, v27 :: v_dual_sub_f32 v0, v25, v26
	ds_bpermute_b32 v25, v140, v0
	v_cndmask_b32_e64 v0, -v0, v0, s36
	s_wait_dscnt 0x0
	v_add_f32_e32 v0, v0, v25
	ds_bpermute_b32 v25, v136, v0
	v_cndmask_b32_e64 v0, -v0, v0, s34
	s_wait_dscnt 0x0
	s_delay_alu instid0(VALU_DEP_1) | instskip(SKIP_3) | instid1(VALU_DEP_1)
	v_add_f32_e32 v0, v0, v25
	ds_bpermute_b32 v25, v138, v0
	v_cndmask_b32_e64 v0, -v0, v0, s35
	s_wait_dscnt 0x0
	v_add_f32_e32 v0, v0, v25
	ds_bpermute_b32 v25, v121, v0
	v_cndmask_b32_e64 v0, -v0, v0, s37
	s_wait_dscnt 0x0
	s_delay_alu instid0(VALU_DEP_1) | instskip(SKIP_3) | instid1(VALU_DEP_1)
	v_add_f32_e32 v0, v0, v25
	ds_bpermute_b32 v25, v122, v0
	v_cndmask_b32_e64 v0, -v0, v0, s38
	s_wait_dscnt 0x0
	v_add_f32_e32 v130, v0, v25
	ds_load_b128 v[53:56], v142
	ds_load_b128 v[49:52], v142 offset:4096
	ds_load_b128 v[45:48], v142 offset:8192
	;; [unrolled: 1-line block ×7, first 2 shown]
	s_wait_loadcnt_dscnt 0x0
	s_barrier_signal -1
	s_barrier_wait -1
	global_inv scope:SCOPE_SE
	ds_store_b128 v134, v[123:126]
	ds_store_b128 v134, v[127:130] offset:4096
	v_dual_add_f32 v0, v21, v22 :: v_dual_add_f32 v123, v23, v24
	v_dual_sub_f32 v21, v21, v22 :: v_dual_sub_f32 v22, v23, v24
	v_add_f32_e32 v23, v17, v18
	s_delay_alu instid0(VALU_DEP_3)
	v_dual_sub_f32 v124, v17, v18 :: v_dual_add_f32 v17, v123, v0
	v_add_f32_e32 v24, v19, v20
	v_dual_sub_f32 v125, v19, v20 :: v_dual_sub_f32 v0, v0, v123
	ds_bpermute_b32 v18, v140, v17
	v_cndmask_b32_e64 v17, -v17, v17, s36
	s_wait_dscnt 0x0
	s_delay_alu instid0(VALU_DEP_1) | instskip(SKIP_4) | instid1(VALU_DEP_1)
	v_add_f32_e32 v17, v17, v18
	v_add_f32_e32 v18, v21, v22
	ds_bpermute_b32 v19, v140, v18
	v_cndmask_b32_e64 v18, -v18, v18, s36
	s_wait_dscnt 0x0
	v_add_f32_e32 v18, v18, v19
	ds_bpermute_b32 v19, v136, v17
	v_cndmask_b32_e64 v17, -v17, v17, s34
	s_wait_dscnt 0x0
	s_delay_alu instid0(VALU_DEP_1) | instskip(SKIP_3) | instid1(VALU_DEP_1)
	v_add_f32_e32 v17, v17, v19
	ds_bpermute_b32 v19, v136, v18
	v_cndmask_b32_e64 v18, -v18, v18, s34
	s_wait_dscnt 0x0
	v_add_f32_e32 v18, v18, v19
	ds_bpermute_b32 v19, v138, v17
	v_cndmask_b32_e64 v17, -v17, v17, s35
	s_wait_dscnt 0x0
	s_delay_alu instid0(VALU_DEP_1) | instskip(SKIP_3) | instid1(VALU_DEP_1)
	;; [unrolled: 9-line block ×3, first 2 shown]
	v_add_f32_e32 v17, v17, v19
	ds_bpermute_b32 v19, v121, v18
	v_cndmask_b32_e64 v18, -v18, v18, s37
	s_wait_dscnt 0x0
	v_add_f32_e32 v18, v18, v19
	ds_bpermute_b32 v19, v122, v17
	v_cndmask_b32_e64 v17, -v17, v17, s38
	ds_bpermute_b32 v20, v122, v18
	v_cndmask_b32_e64 v18, -v18, v18, s38
	s_wait_dscnt 0x1
	v_add_f32_e32 v17, v17, v19
	ds_bpermute_b32 v19, v140, v0
	v_cndmask_b32_e64 v0, -v0, v0, s36
	s_wait_dscnt 0x1
	v_add_f32_e32 v18, v18, v20
	s_wait_dscnt 0x0
	s_delay_alu instid0(VALU_DEP_2) | instskip(SKIP_3) | instid1(VALU_DEP_1)
	v_add_f32_e32 v0, v0, v19
	ds_bpermute_b32 v19, v136, v0
	v_cndmask_b32_e64 v0, -v0, v0, s34
	s_wait_dscnt 0x0
	v_add_f32_e32 v0, v0, v19
	ds_bpermute_b32 v19, v138, v0
	v_cndmask_b32_e64 v0, -v0, v0, s35
	s_wait_dscnt 0x0
	s_delay_alu instid0(VALU_DEP_1) | instskip(SKIP_3) | instid1(VALU_DEP_1)
	v_add_f32_e32 v0, v0, v19
	ds_bpermute_b32 v19, v121, v0
	v_cndmask_b32_e64 v0, -v0, v0, s37
	s_wait_dscnt 0x0
	v_add_f32_e32 v0, v0, v19
	ds_bpermute_b32 v19, v122, v0
	v_cndmask_b32_e64 v0, -v0, v0, s38
	s_wait_dscnt 0x0
	s_delay_alu instid0(VALU_DEP_1) | instskip(SKIP_3) | instid1(VALU_DEP_1)
	v_dual_add_f32 v19, v0, v19 :: v_dual_sub_f32 v0, v21, v22
	ds_bpermute_b32 v20, v140, v0
	v_cndmask_b32_e64 v0, -v0, v0, s36
	s_wait_dscnt 0x0
	v_add_f32_e32 v0, v0, v20
	ds_bpermute_b32 v20, v136, v0
	v_cndmask_b32_e64 v0, -v0, v0, s34
	s_wait_dscnt 0x0
	s_delay_alu instid0(VALU_DEP_1) | instskip(SKIP_3) | instid1(VALU_DEP_1)
	v_add_f32_e32 v0, v0, v20
	ds_bpermute_b32 v20, v138, v0
	v_cndmask_b32_e64 v0, -v0, v0, s35
	s_wait_dscnt 0x0
	v_add_f32_e32 v0, v0, v20
	ds_bpermute_b32 v20, v121, v0
	v_cndmask_b32_e64 v0, -v0, v0, s37
	s_wait_dscnt 0x0
	s_delay_alu instid0(VALU_DEP_1) | instskip(SKIP_3) | instid1(VALU_DEP_1)
	v_add_f32_e32 v0, v0, v20
	ds_bpermute_b32 v20, v122, v0
	v_cndmask_b32_e64 v0, -v0, v0, s38
	s_wait_dscnt 0x0
	v_add_f32_e32 v20, v0, v20
	v_add_f32_e32 v0, v24, v23
	ds_bpermute_b32 v21, v140, v0
	v_cndmask_b32_e64 v0, -v0, v0, s36
	s_wait_dscnt 0x0
	s_delay_alu instid0(VALU_DEP_1) | instskip(SKIP_4) | instid1(VALU_DEP_1)
	v_add_f32_e32 v0, v0, v21
	v_add_f32_e32 v21, v124, v125
	ds_bpermute_b32 v22, v140, v21
	v_cndmask_b32_e64 v21, -v21, v21, s36
	s_wait_dscnt 0x0
	v_add_f32_e32 v21, v21, v22
	ds_bpermute_b32 v22, v136, v0
	v_cndmask_b32_e64 v0, -v0, v0, s34
	s_wait_dscnt 0x0
	s_delay_alu instid0(VALU_DEP_1) | instskip(SKIP_3) | instid1(VALU_DEP_1)
	v_add_f32_e32 v0, v0, v22
	ds_bpermute_b32 v22, v136, v21
	v_cndmask_b32_e64 v21, -v21, v21, s34
	s_wait_dscnt 0x0
	v_add_f32_e32 v21, v21, v22
	ds_bpermute_b32 v22, v138, v0
	v_cndmask_b32_e64 v0, -v0, v0, s35
	s_wait_dscnt 0x0
	s_delay_alu instid0(VALU_DEP_1) | instskip(SKIP_3) | instid1(VALU_DEP_1)
	;; [unrolled: 9-line block ×3, first 2 shown]
	v_add_f32_e32 v0, v0, v22
	ds_bpermute_b32 v22, v121, v21
	v_cndmask_b32_e64 v21, -v21, v21, s37
	s_wait_dscnt 0x0
	v_add_f32_e32 v21, v21, v22
	ds_bpermute_b32 v22, v122, v0
	v_cndmask_b32_e64 v0, -v0, v0, s38
	ds_bpermute_b32 v123, v122, v21
	v_cndmask_b32_e64 v126, -v21, v21, s38
	s_wait_dscnt 0x1
	v_dual_add_f32 v21, v0, v22 :: v_dual_sub_f32 v0, v23, v24
	s_wait_dscnt 0x0
	s_delay_alu instid0(VALU_DEP_2) | instskip(SKIP_3) | instid1(VALU_DEP_1)
	v_add_f32_e32 v22, v126, v123
	ds_bpermute_b32 v23, v140, v0
	v_cndmask_b32_e64 v0, -v0, v0, s36
	s_wait_dscnt 0x0
	v_add_f32_e32 v0, v0, v23
	ds_bpermute_b32 v23, v136, v0
	v_cndmask_b32_e64 v0, -v0, v0, s34
	s_wait_dscnt 0x0
	s_delay_alu instid0(VALU_DEP_1) | instskip(SKIP_3) | instid1(VALU_DEP_1)
	v_add_f32_e32 v0, v0, v23
	ds_bpermute_b32 v23, v138, v0
	v_cndmask_b32_e64 v0, -v0, v0, s35
	s_wait_dscnt 0x0
	v_add_f32_e32 v0, v0, v23
	ds_bpermute_b32 v23, v121, v0
	v_cndmask_b32_e64 v0, -v0, v0, s37
	s_wait_dscnt 0x0
	s_delay_alu instid0(VALU_DEP_1) | instskip(SKIP_3) | instid1(VALU_DEP_1)
	v_add_f32_e32 v0, v0, v23
	ds_bpermute_b32 v23, v122, v0
	v_cndmask_b32_e64 v0, -v0, v0, s38
	s_wait_dscnt 0x0
	v_add_f32_e32 v23, v0, v23
	v_sub_f32_e32 v0, v124, v125
	ds_bpermute_b32 v24, v140, v0
	v_cndmask_b32_e64 v0, -v0, v0, s36
	s_wait_dscnt 0x0
	s_delay_alu instid0(VALU_DEP_1) | instskip(SKIP_3) | instid1(VALU_DEP_1)
	v_add_f32_e32 v0, v0, v24
	ds_bpermute_b32 v24, v136, v0
	v_cndmask_b32_e64 v0, -v0, v0, s34
	s_wait_dscnt 0x0
	v_add_f32_e32 v0, v0, v24
	ds_bpermute_b32 v24, v138, v0
	v_cndmask_b32_e64 v0, -v0, v0, s35
	s_wait_dscnt 0x0
	s_delay_alu instid0(VALU_DEP_1) | instskip(SKIP_3) | instid1(VALU_DEP_1)
	v_add_f32_e32 v0, v0, v24
	ds_bpermute_b32 v24, v121, v0
	v_cndmask_b32_e64 v0, -v0, v0, s37
	s_wait_dscnt 0x0
	v_add_f32_e32 v0, v0, v24
	ds_bpermute_b32 v24, v122, v0
	v_cndmask_b32_e64 v0, -v0, v0, s38
	s_wait_dscnt 0x0
	s_delay_alu instid0(VALU_DEP_1)
	v_add_f32_e32 v24, v0, v24
	ds_store_b128 v134, v[17:20] offset:8192
	ds_store_b128 v134, v[21:24] offset:12288
	v_dual_add_f32 v0, v13, v14 :: v_dual_add_f32 v17, v15, v16
	v_dual_sub_f32 v13, v13, v14 :: v_dual_sub_f32 v14, v15, v16
	v_add_f32_e32 v15, v9, v10
	v_sub_f32_e32 v18, v9, v10
	s_delay_alu instid0(VALU_DEP_4)
	v_add_f32_e32 v9, v17, v0
	v_add_f32_e32 v16, v11, v12
	v_dual_sub_f32 v19, v11, v12 :: v_dual_sub_f32 v0, v0, v17
	v_cndmask_b32_e64 v22, -v105, v105, s36
	ds_bpermute_b32 v10, v140, v9
	v_cndmask_b32_e64 v9, -v9, v9, s36
	ds_bpermute_b32 v21, v140, v106
	;; [unrolled: 2-line block ×3, first 2 shown]
	v_cndmask_b32_e64 v106, -v107, v107, s36
	v_cndmask_b32_e64 v107, -v108, v108, s36
	s_wait_dscnt 0x2
	v_add_f32_e32 v9, v9, v10
	v_add_f32_e32 v10, v13, v14
	ds_bpermute_b32 v11, v140, v10
	v_cndmask_b32_e64 v10, -v10, v10, s36
	s_wait_dscnt 0x0
	s_delay_alu instid0(VALU_DEP_1) | instskip(SKIP_3) | instid1(VALU_DEP_1)
	v_add_f32_e32 v10, v10, v11
	ds_bpermute_b32 v11, v136, v9
	v_cndmask_b32_e64 v9, -v9, v9, s34
	s_wait_dscnt 0x0
	v_add_f32_e32 v9, v9, v11
	ds_bpermute_b32 v11, v136, v10
	v_cndmask_b32_e64 v10, -v10, v10, s34
	s_wait_dscnt 0x0
	s_delay_alu instid0(VALU_DEP_1) | instskip(SKIP_3) | instid1(VALU_DEP_1)
	v_add_f32_e32 v10, v10, v11
	ds_bpermute_b32 v11, v138, v9
	v_cndmask_b32_e64 v9, -v9, v9, s35
	s_wait_dscnt 0x0
	;; [unrolled: 9-line block ×3, first 2 shown]
	v_add_f32_e32 v9, v9, v11
	ds_bpermute_b32 v11, v121, v10
	v_cndmask_b32_e64 v10, -v10, v10, s37
	s_wait_dscnt 0x0
	s_delay_alu instid0(VALU_DEP_1)
	v_add_f32_e32 v10, v10, v11
	ds_bpermute_b32 v11, v122, v9
	v_cndmask_b32_e64 v9, -v9, v9, s38
	ds_bpermute_b32 v12, v122, v10
	v_cndmask_b32_e64 v10, -v10, v10, s38
	s_wait_dscnt 0x1
	v_add_f32_e32 v9, v9, v11
	ds_bpermute_b32 v11, v140, v0
	v_cndmask_b32_e64 v0, -v0, v0, s36
	s_wait_dscnt 0x1
	v_add_f32_e32 v10, v10, v12
	s_wait_dscnt 0x0
	s_delay_alu instid0(VALU_DEP_2) | instskip(SKIP_3) | instid1(VALU_DEP_1)
	v_add_f32_e32 v0, v0, v11
	ds_bpermute_b32 v11, v136, v0
	v_cndmask_b32_e64 v0, -v0, v0, s34
	s_wait_dscnt 0x0
	v_add_f32_e32 v0, v0, v11
	ds_bpermute_b32 v11, v138, v0
	v_cndmask_b32_e64 v0, -v0, v0, s35
	s_wait_dscnt 0x0
	s_delay_alu instid0(VALU_DEP_1) | instskip(SKIP_3) | instid1(VALU_DEP_1)
	v_add_f32_e32 v0, v0, v11
	ds_bpermute_b32 v11, v121, v0
	v_cndmask_b32_e64 v0, -v0, v0, s37
	s_wait_dscnt 0x0
	v_add_f32_e32 v0, v0, v11
	ds_bpermute_b32 v11, v122, v0
	v_cndmask_b32_e64 v0, -v0, v0, s38
	s_wait_dscnt 0x0
	s_delay_alu instid0(VALU_DEP_1) | instskip(SKIP_3) | instid1(VALU_DEP_1)
	v_dual_add_f32 v11, v0, v11 :: v_dual_sub_f32 v0, v13, v14
	ds_bpermute_b32 v12, v140, v0
	v_cndmask_b32_e64 v0, -v0, v0, s36
	s_wait_dscnt 0x0
	v_add_f32_e32 v0, v0, v12
	ds_bpermute_b32 v12, v136, v0
	v_cndmask_b32_e64 v0, -v0, v0, s34
	s_wait_dscnt 0x0
	s_delay_alu instid0(VALU_DEP_1) | instskip(SKIP_3) | instid1(VALU_DEP_1)
	v_add_f32_e32 v0, v0, v12
	ds_bpermute_b32 v12, v138, v0
	v_cndmask_b32_e64 v0, -v0, v0, s35
	s_wait_dscnt 0x0
	v_add_f32_e32 v0, v0, v12
	ds_bpermute_b32 v12, v121, v0
	v_cndmask_b32_e64 v0, -v0, v0, s37
	s_wait_dscnt 0x0
	s_delay_alu instid0(VALU_DEP_1) | instskip(SKIP_3) | instid1(VALU_DEP_1)
	v_add_f32_e32 v0, v0, v12
	ds_bpermute_b32 v12, v122, v0
	v_cndmask_b32_e64 v0, -v0, v0, s38
	s_wait_dscnt 0x0
	v_add_f32_e32 v12, v0, v12
	v_add_f32_e32 v0, v16, v15
	ds_bpermute_b32 v13, v140, v0
	v_cndmask_b32_e64 v0, -v0, v0, s36
	s_wait_dscnt 0x0
	s_delay_alu instid0(VALU_DEP_1) | instskip(SKIP_3) | instid1(VALU_DEP_1)
	v_dual_add_f32 v0, v0, v13 :: v_dual_add_f32 v13, v18, v19
	ds_bpermute_b32 v14, v140, v13
	v_cndmask_b32_e64 v13, -v13, v13, s36
	s_wait_dscnt 0x0
	v_add_f32_e32 v13, v13, v14
	ds_bpermute_b32 v14, v136, v0
	v_cndmask_b32_e64 v0, -v0, v0, s34
	s_wait_dscnt 0x0
	s_delay_alu instid0(VALU_DEP_1) | instskip(SKIP_3) | instid1(VALU_DEP_1)
	v_add_f32_e32 v0, v0, v14
	ds_bpermute_b32 v14, v136, v13
	v_cndmask_b32_e64 v13, -v13, v13, s34
	s_wait_dscnt 0x0
	v_add_f32_e32 v13, v13, v14
	ds_bpermute_b32 v14, v138, v0
	v_cndmask_b32_e64 v0, -v0, v0, s35
	s_wait_dscnt 0x0
	s_delay_alu instid0(VALU_DEP_1) | instskip(SKIP_3) | instid1(VALU_DEP_1)
	v_add_f32_e32 v0, v0, v14
	;; [unrolled: 9-line block ×3, first 2 shown]
	ds_bpermute_b32 v14, v121, v13
	v_cndmask_b32_e64 v13, -v13, v13, s37
	s_wait_dscnt 0x0
	v_add_f32_e32 v13, v13, v14
	ds_bpermute_b32 v14, v122, v0
	v_cndmask_b32_e64 v0, -v0, v0, s38
	ds_bpermute_b32 v17, v122, v13
	v_cndmask_b32_e64 v20, -v13, v13, s38
	s_wait_dscnt 0x1
	v_dual_add_f32 v13, v0, v14 :: v_dual_sub_f32 v0, v15, v16
	s_wait_dscnt 0x0
	s_delay_alu instid0(VALU_DEP_2) | instskip(SKIP_4) | instid1(VALU_DEP_1)
	v_add_f32_e32 v14, v20, v17
	v_cndmask_b32_e64 v20, -v116, v116, s36
	ds_bpermute_b32 v15, v140, v0
	v_cndmask_b32_e64 v0, -v0, v0, s36
	s_wait_dscnt 0x0
	v_add_f32_e32 v0, v0, v15
	ds_bpermute_b32 v15, v136, v0
	v_cndmask_b32_e64 v0, -v0, v0, s34
	s_wait_dscnt 0x0
	s_delay_alu instid0(VALU_DEP_1) | instskip(SKIP_3) | instid1(VALU_DEP_1)
	v_add_f32_e32 v0, v0, v15
	ds_bpermute_b32 v15, v138, v0
	v_cndmask_b32_e64 v0, -v0, v0, s35
	s_wait_dscnt 0x0
	v_add_f32_e32 v0, v0, v15
	ds_bpermute_b32 v15, v121, v0
	v_cndmask_b32_e64 v0, -v0, v0, s37
	s_wait_dscnt 0x0
	s_delay_alu instid0(VALU_DEP_1) | instskip(SKIP_3) | instid1(VALU_DEP_1)
	v_add_f32_e32 v0, v0, v15
	ds_bpermute_b32 v15, v122, v0
	v_cndmask_b32_e64 v0, -v0, v0, s38
	s_wait_dscnt 0x0
	v_add_f32_e32 v15, v0, v15
	v_sub_f32_e32 v0, v18, v19
	v_cndmask_b32_e64 v18, -v115, v115, s36
	ds_bpermute_b32 v19, v140, v116
	ds_bpermute_b32 v16, v140, v0
	v_cndmask_b32_e64 v0, -v0, v0, s36
	s_wait_dscnt 0x0
	s_delay_alu instid0(VALU_DEP_1) | instskip(SKIP_3) | instid1(VALU_DEP_1)
	v_add_f32_e32 v0, v0, v16
	ds_bpermute_b32 v16, v136, v0
	v_cndmask_b32_e64 v0, -v0, v0, s34
	s_wait_dscnt 0x0
	v_add_f32_e32 v0, v0, v16
	ds_bpermute_b32 v16, v138, v0
	v_cndmask_b32_e64 v0, -v0, v0, s35
	s_wait_dscnt 0x0
	s_delay_alu instid0(VALU_DEP_1) | instskip(SKIP_3) | instid1(VALU_DEP_1)
	v_add_f32_e32 v0, v0, v16
	ds_bpermute_b32 v16, v121, v0
	v_cndmask_b32_e64 v0, -v0, v0, s37
	s_wait_dscnt 0x0
	v_add_f32_e32 v0, v0, v16
	ds_bpermute_b32 v16, v122, v0
	v_cndmask_b32_e64 v0, -v0, v0, s38
	s_wait_dscnt 0x0
	s_delay_alu instid0(VALU_DEP_1)
	v_add_f32_e32 v16, v0, v16
	ds_store_b128 v134, v[9:12] offset:16384
	ds_store_b128 v134, v[13:16] offset:20480
	v_dual_add_f32 v9, v5, v6 :: v_dual_add_f32 v10, v7, v8
	v_dual_sub_f32 v5, v5, v6 :: v_dual_sub_f32 v6, v7, v8
	v_add_f32_e32 v7, v1, v2
	s_delay_alu instid0(VALU_DEP_3)
	v_dual_sub_f32 v11, v1, v2 :: v_dual_add_f32 v0, v10, v9
	v_add_f32_e32 v8, v3, v4
	v_sub_f32_e32 v12, v3, v4
	v_cndmask_b32_e64 v15, -v113, v113, s36
	ds_bpermute_b32 v13, v140, v114
	ds_bpermute_b32 v1, v140, v0
	v_cndmask_b32_e64 v0, -v0, v0, s36
	v_cndmask_b32_e64 v16, -v114, v114, s36
	ds_bpermute_b32 v14, v140, v115
	s_wait_dscnt 0x1
	v_dual_add_f32 v0, v0, v1 :: v_dual_add_f32 v1, v5, v6
	ds_bpermute_b32 v2, v140, v1
	v_cndmask_b32_e64 v1, -v1, v1, s36
	s_wait_dscnt 0x0
	s_delay_alu instid0(VALU_DEP_1) | instskip(SKIP_3) | instid1(VALU_DEP_1)
	v_add_f32_e32 v1, v1, v2
	ds_bpermute_b32 v2, v136, v0
	v_cndmask_b32_e64 v0, -v0, v0, s34
	s_wait_dscnt 0x0
	v_add_f32_e32 v0, v0, v2
	ds_bpermute_b32 v2, v136, v1
	v_cndmask_b32_e64 v1, -v1, v1, s34
	s_wait_dscnt 0x0
	s_delay_alu instid0(VALU_DEP_1) | instskip(SKIP_3) | instid1(VALU_DEP_1)
	v_add_f32_e32 v1, v1, v2
	ds_bpermute_b32 v2, v138, v0
	v_cndmask_b32_e64 v0, -v0, v0, s35
	s_wait_dscnt 0x0
	v_add_f32_e32 v0, v0, v2
	;; [unrolled: 9-line block ×3, first 2 shown]
	ds_bpermute_b32 v2, v121, v1
	v_cndmask_b32_e64 v1, -v1, v1, s37
	s_wait_dscnt 0x0
	s_delay_alu instid0(VALU_DEP_1)
	v_add_f32_e32 v1, v1, v2
	ds_bpermute_b32 v2, v122, v0
	v_cndmask_b32_e64 v0, -v0, v0, s38
	ds_bpermute_b32 v3, v122, v1
	v_cndmask_b32_e64 v1, -v1, v1, s38
	s_wait_dscnt 0x1
	v_add_f32_e32 v0, v0, v2
	v_sub_f32_e32 v2, v9, v10
	s_wait_dscnt 0x0
	v_add_f32_e32 v1, v1, v3
	ds_bpermute_b32 v3, v140, v2
	v_cndmask_b32_e64 v2, -v2, v2, s36
	s_wait_dscnt 0x0
	s_delay_alu instid0(VALU_DEP_1) | instskip(SKIP_3) | instid1(VALU_DEP_1)
	v_add_f32_e32 v2, v2, v3
	ds_bpermute_b32 v3, v136, v2
	v_cndmask_b32_e64 v2, -v2, v2, s34
	s_wait_dscnt 0x0
	v_add_f32_e32 v2, v2, v3
	ds_bpermute_b32 v3, v138, v2
	v_cndmask_b32_e64 v2, -v2, v2, s35
	s_wait_dscnt 0x0
	s_delay_alu instid0(VALU_DEP_1) | instskip(SKIP_3) | instid1(VALU_DEP_1)
	v_add_f32_e32 v2, v2, v3
	ds_bpermute_b32 v3, v121, v2
	v_cndmask_b32_e64 v2, -v2, v2, s37
	s_wait_dscnt 0x0
	v_add_f32_e32 v2, v2, v3
	ds_bpermute_b32 v3, v122, v2
	v_cndmask_b32_e64 v2, -v2, v2, s38
	s_wait_dscnt 0x0
	s_delay_alu instid0(VALU_DEP_1) | instskip(SKIP_3) | instid1(VALU_DEP_1)
	v_dual_add_f32 v2, v2, v3 :: v_dual_sub_f32 v3, v5, v6
	ds_bpermute_b32 v4, v140, v3
	v_cndmask_b32_e64 v3, -v3, v3, s36
	s_wait_dscnt 0x0
	v_add_f32_e32 v3, v3, v4
	ds_bpermute_b32 v4, v136, v3
	v_cndmask_b32_e64 v3, -v3, v3, s34
	s_wait_dscnt 0x0
	s_delay_alu instid0(VALU_DEP_1) | instskip(SKIP_3) | instid1(VALU_DEP_1)
	v_add_f32_e32 v3, v3, v4
	ds_bpermute_b32 v4, v138, v3
	v_cndmask_b32_e64 v3, -v3, v3, s35
	s_wait_dscnt 0x0
	v_add_f32_e32 v3, v3, v4
	ds_bpermute_b32 v4, v121, v3
	v_cndmask_b32_e64 v3, -v3, v3, s37
	s_wait_dscnt 0x0
	s_delay_alu instid0(VALU_DEP_1) | instskip(SKIP_3) | instid1(VALU_DEP_1)
	v_add_f32_e32 v3, v3, v4
	ds_bpermute_b32 v4, v122, v3
	v_cndmask_b32_e64 v3, -v3, v3, s38
	s_wait_dscnt 0x0
	v_dual_add_f32 v3, v3, v4 :: v_dual_add_f32 v4, v8, v7
	ds_bpermute_b32 v5, v140, v4
	v_cndmask_b32_e64 v4, -v4, v4, s36
	s_wait_dscnt 0x0
	s_delay_alu instid0(VALU_DEP_1) | instskip(SKIP_3) | instid1(VALU_DEP_1)
	v_dual_add_f32 v4, v4, v5 :: v_dual_add_f32 v5, v11, v12
	ds_bpermute_b32 v6, v140, v5
	v_cndmask_b32_e64 v5, -v5, v5, s36
	s_wait_dscnt 0x0
	v_add_f32_e32 v5, v5, v6
	ds_bpermute_b32 v6, v136, v4
	v_cndmask_b32_e64 v4, -v4, v4, s34
	s_wait_dscnt 0x0
	s_delay_alu instid0(VALU_DEP_1) | instskip(SKIP_3) | instid1(VALU_DEP_1)
	v_add_f32_e32 v4, v4, v6
	ds_bpermute_b32 v6, v136, v5
	v_cndmask_b32_e64 v5, -v5, v5, s34
	s_wait_dscnt 0x0
	v_add_f32_e32 v5, v5, v6
	ds_bpermute_b32 v6, v138, v4
	v_cndmask_b32_e64 v4, -v4, v4, s35
	s_wait_dscnt 0x0
	s_delay_alu instid0(VALU_DEP_1) | instskip(SKIP_3) | instid1(VALU_DEP_1)
	v_add_f32_e32 v4, v4, v6
	;; [unrolled: 9-line block ×3, first 2 shown]
	ds_bpermute_b32 v6, v121, v5
	v_cndmask_b32_e64 v5, -v5, v5, s37
	s_wait_dscnt 0x0
	v_add_f32_e32 v5, v5, v6
	ds_bpermute_b32 v6, v122, v4
	v_cndmask_b32_e64 v4, -v4, v4, s38
	ds_bpermute_b32 v9, v122, v5
	v_cndmask_b32_e64 v5, -v5, v5, s38
	s_wait_dscnt 0x1
	v_add_f32_e32 v4, v4, v6
	s_wait_dscnt 0x0
	s_delay_alu instid0(VALU_DEP_2) | instskip(SKIP_3) | instid1(VALU_DEP_1)
	v_dual_sub_f32 v6, v7, v8 :: v_dual_add_f32 v5, v5, v9
	ds_bpermute_b32 v7, v140, v6
	v_cndmask_b32_e64 v6, -v6, v6, s36
	s_wait_dscnt 0x0
	v_add_f32_e32 v6, v6, v7
	ds_bpermute_b32 v7, v136, v6
	v_cndmask_b32_e64 v6, -v6, v6, s34
	s_wait_dscnt 0x0
	s_delay_alu instid0(VALU_DEP_1) | instskip(SKIP_3) | instid1(VALU_DEP_1)
	v_add_f32_e32 v6, v6, v7
	ds_bpermute_b32 v7, v138, v6
	v_cndmask_b32_e64 v6, -v6, v6, s35
	s_wait_dscnt 0x0
	v_add_f32_e32 v6, v6, v7
	ds_bpermute_b32 v7, v121, v6
	v_cndmask_b32_e64 v6, -v6, v6, s37
	s_wait_dscnt 0x0
	s_delay_alu instid0(VALU_DEP_1) | instskip(SKIP_3) | instid1(VALU_DEP_1)
	v_add_f32_e32 v6, v6, v7
	ds_bpermute_b32 v7, v122, v6
	v_cndmask_b32_e64 v6, -v6, v6, s38
	s_wait_dscnt 0x0
	v_dual_add_f32 v6, v6, v7 :: v_dual_sub_f32 v7, v11, v12
	ds_bpermute_b32 v12, v140, v113
	ds_bpermute_b32 v8, v140, v7
	v_cndmask_b32_e64 v7, -v7, v7, s36
	s_wait_dscnt 0x0
	s_delay_alu instid0(VALU_DEP_1) | instskip(SKIP_3) | instid1(VALU_DEP_1)
	v_add_f32_e32 v7, v7, v8
	ds_bpermute_b32 v8, v136, v7
	v_cndmask_b32_e64 v7, -v7, v7, s34
	s_wait_dscnt 0x0
	v_add_f32_e32 v7, v7, v8
	ds_bpermute_b32 v8, v138, v7
	v_cndmask_b32_e64 v7, -v7, v7, s35
	s_wait_dscnt 0x0
	s_delay_alu instid0(VALU_DEP_1) | instskip(SKIP_3) | instid1(VALU_DEP_1)
	v_add_f32_e32 v7, v7, v8
	ds_bpermute_b32 v8, v121, v7
	v_cndmask_b32_e64 v7, -v7, v7, s37
	s_wait_dscnt 0x0
	v_add_f32_e32 v7, v7, v8
	ds_bpermute_b32 v8, v122, v7
	v_cndmask_b32_e64 v7, -v7, v7, s38
	s_wait_dscnt 0x0
	s_delay_alu instid0(VALU_DEP_1)
	v_add_f32_e32 v7, v7, v8
	ds_store_b128 v134, v[0:3] offset:24576
	ds_store_b128 v134, v[4:7] offset:28672
	ds_bpermute_b32 v3, v140, v117
	v_cndmask_b32_e64 v6, -v117, v117, s36
	ds_bpermute_b32 v4, v140, v118
	v_cndmask_b32_e64 v7, -v118, v118, s36
	ds_bpermute_b32 v0, v140, v119
	v_cndmask_b32_e64 v5, -v119, v119, s36
	ds_bpermute_b32 v1, v140, v120
	v_cndmask_b32_e64 v2, -v120, v120, s36
	s_wait_loadcnt_dscnt 0x0
	s_barrier_signal -1
	s_barrier_wait -1
	global_inv scope:SCOPE_SE
	v_dual_add_f32 v3, v6, v3 :: v_dual_add_f32 v4, v7, v4
	v_add_f32_e32 v0, v5, v0
	ds_bpermute_b32 v6, v136, v3
	v_cndmask_b32_e64 v3, -v3, v3, s34
	s_wait_dscnt 0x0
	s_delay_alu instid0(VALU_DEP_1) | instskip(SKIP_3) | instid1(VALU_DEP_1)
	v_add_f32_e32 v3, v3, v6
	ds_bpermute_b32 v6, v136, v4
	v_cndmask_b32_e64 v4, -v4, v4, s34
	s_wait_dscnt 0x0
	v_add_f32_e32 v4, v4, v6
	ds_bpermute_b32 v6, v138, v3
	v_cndmask_b32_e64 v3, -v3, v3, s35
	ds_bpermute_b32 v7, v138, v4
	v_cndmask_b32_e64 v4, -v4, v4, s35
	s_wait_dscnt 0x1
	v_add_f32_e32 v8, v3, v6
	ds_bpermute_b32 v3, v136, v0
	v_cndmask_b32_e64 v0, -v0, v0, s34
	s_wait_dscnt 0x1
	v_add_f32_e32 v9, v4, v7
	s_wait_dscnt 0x0
	s_delay_alu instid0(VALU_DEP_2) | instskip(SKIP_3) | instid1(VALU_DEP_1)
	v_add_f32_e32 v0, v0, v3
	ds_bpermute_b32 v3, v138, v0
	v_cndmask_b32_e64 v0, -v0, v0, s35
	s_wait_dscnt 0x0
	v_add_f32_e32 v10, v0, v3
	v_add_f32_e32 v0, v2, v1
	ds_bpermute_b32 v1, v136, v0
	v_cndmask_b32_e64 v0, -v0, v0, s34
	s_wait_dscnt 0x0
	s_delay_alu instid0(VALU_DEP_1) | instskip(SKIP_3) | instid1(VALU_DEP_1)
	v_add_f32_e32 v0, v0, v1
	ds_bpermute_b32 v1, v138, v0
	v_cndmask_b32_e64 v0, -v0, v0, s35
	s_wait_dscnt 0x0
	v_dual_add_f32 v11, v0, v1 :: v_dual_add_f32 v0, v15, v12
	v_add_f32_e32 v1, v16, v13
	ds_bpermute_b32 v2, v136, v0
	v_cndmask_b32_e64 v0, -v0, v0, s34
	s_wait_dscnt 0x0
	s_delay_alu instid0(VALU_DEP_1) | instskip(SKIP_3) | instid1(VALU_DEP_1)
	v_add_f32_e32 v0, v0, v2
	ds_bpermute_b32 v2, v136, v1
	v_cndmask_b32_e64 v1, -v1, v1, s34
	s_wait_dscnt 0x0
	v_add_f32_e32 v1, v1, v2
	ds_bpermute_b32 v2, v138, v0
	v_cndmask_b32_e64 v0, -v0, v0, s35
	ds_bpermute_b32 v3, v138, v1
	v_cndmask_b32_e64 v1, -v1, v1, s35
	s_wait_dscnt 0x1
	v_add_f32_e32 v16, v0, v2
	s_wait_dscnt 0x0
	s_delay_alu instid0(VALU_DEP_2) | instskip(SKIP_3) | instid1(VALU_DEP_1)
	v_dual_add_f32 v0, v18, v14 :: v_dual_add_f32 v17, v1, v3
	ds_bpermute_b32 v1, v136, v0
	v_cndmask_b32_e64 v0, -v0, v0, s34
	s_wait_dscnt 0x0
	v_add_f32_e32 v0, v0, v1
	ds_bpermute_b32 v1, v138, v0
	v_cndmask_b32_e64 v0, -v0, v0, s35
	s_wait_dscnt 0x0
	s_delay_alu instid0(VALU_DEP_1)
	v_add_f32_e32 v18, v0, v1
	v_add_f32_e32 v0, v20, v19
	ds_bpermute_b32 v20, v140, v105
	ds_bpermute_b32 v105, v140, v108
	;; [unrolled: 1-line block ×3, first 2 shown]
	v_cndmask_b32_e64 v0, -v0, v0, s34
	s_wait_dscnt 0x0
	s_delay_alu instid0(VALU_DEP_1) | instskip(SKIP_3) | instid1(VALU_DEP_1)
	v_add_f32_e32 v0, v0, v1
	ds_bpermute_b32 v1, v138, v0
	v_cndmask_b32_e64 v0, -v0, v0, s35
	s_wait_dscnt 0x0
	v_add_f32_e32 v19, v0, v1
	ds_load_b128 v[129:132], v142
	ds_load_b128 v[125:128], v142 offset:4096
	ds_load_b128 v[121:124], v142 offset:8192
	;; [unrolled: 1-line block ×7, first 2 shown]
	s_wait_loadcnt_dscnt 0x0
	s_barrier_signal -1
	s_barrier_wait -1
	global_inv scope:SCOPE_SE
	ds_store_b128 v142, v[8:11]
	ds_store_b128 v142, v[16:19] offset:4096
	ds_bpermute_b32 v8, v140, v109
	v_cndmask_b32_e64 v10, -v109, v109, s36
	ds_bpermute_b32 v9, v140, v110
	v_cndmask_b32_e64 v17, -v110, v110, s36
	ds_bpermute_b32 v11, v140, v111
	v_cndmask_b32_e64 v18, -v111, v111, s36
	ds_bpermute_b32 v16, v140, v112
	v_cndmask_b32_e64 v19, -v112, v112, s36
	v_cndmask_b32_e64 v109, -v74, v74, s36
	v_cndmask_b32_e64 v110, -v75, v75, s36
	;; [unrolled: 1-line block ×3, first 2 shown]
	s_wait_dscnt 0x2
	v_dual_add_f32 v8, v10, v8 :: v_dual_add_f32 v9, v17, v9
	ds_bpermute_b32 v10, v136, v8
	v_cndmask_b32_e64 v8, -v8, v8, s34
	s_wait_dscnt 0x0
	s_delay_alu instid0(VALU_DEP_1) | instskip(SKIP_3) | instid1(VALU_DEP_1)
	v_add_f32_e32 v8, v8, v10
	ds_bpermute_b32 v10, v136, v9
	v_cndmask_b32_e64 v9, -v9, v9, s34
	s_wait_dscnt 0x0
	v_add_f32_e32 v9, v9, v10
	ds_bpermute_b32 v10, v138, v8
	v_cndmask_b32_e64 v8, -v8, v8, s35
	ds_bpermute_b32 v17, v138, v9
	v_cndmask_b32_e64 v9, -v9, v9, s35
	s_wait_dscnt 0x1
	v_add_f32_e32 v8, v8, v10
	s_wait_dscnt 0x0
	s_delay_alu instid0(VALU_DEP_2)
	v_dual_add_f32 v10, v18, v11 :: v_dual_add_f32 v9, v9, v17
	v_add_f32_e32 v17, v23, v21
	ds_bpermute_b32 v11, v136, v10
	v_cndmask_b32_e64 v10, -v10, v10, s34
	v_cndmask_b32_e64 v23, -v97, v97, s36
	ds_bpermute_b32 v21, v140, v98
	s_wait_dscnt 0x1
	v_add_f32_e32 v10, v10, v11
	ds_bpermute_b32 v11, v138, v10
	v_cndmask_b32_e64 v10, -v10, v10, s35
	s_wait_dscnt 0x0
	s_delay_alu instid0(VALU_DEP_1) | instskip(SKIP_3) | instid1(VALU_DEP_1)
	v_dual_add_f32 v10, v10, v11 :: v_dual_add_f32 v11, v19, v16
	ds_bpermute_b32 v16, v136, v11
	v_cndmask_b32_e64 v11, -v11, v11, s34
	s_wait_dscnt 0x0
	v_add_f32_e32 v11, v11, v16
	ds_bpermute_b32 v16, v138, v11
	v_cndmask_b32_e64 v11, -v11, v11, s35
	s_wait_dscnt 0x0
	s_delay_alu instid0(VALU_DEP_1)
	v_add_f32_e32 v11, v11, v16
	v_add_f32_e32 v16, v22, v20
	ds_bpermute_b32 v22, v140, v99
	ds_bpermute_b32 v18, v136, v16
	v_cndmask_b32_e64 v16, -v16, v16, s34
	s_wait_dscnt 0x0
	s_delay_alu instid0(VALU_DEP_1) | instskip(SKIP_3) | instid1(VALU_DEP_1)
	v_add_f32_e32 v16, v16, v18
	ds_bpermute_b32 v18, v136, v17
	v_cndmask_b32_e64 v17, -v17, v17, s34
	s_wait_dscnt 0x0
	v_add_f32_e32 v17, v17, v18
	ds_bpermute_b32 v18, v138, v16
	v_cndmask_b32_e64 v16, -v16, v16, s35
	ds_bpermute_b32 v19, v138, v17
	v_cndmask_b32_e64 v17, -v17, v17, s35
	s_wait_dscnt 0x1
	v_add_f32_e32 v16, v16, v18
	v_add_f32_e32 v18, v106, v24
	ds_bpermute_b32 v24, v140, v100
	s_wait_dscnt 0x1
	v_add_f32_e32 v17, v17, v19
	ds_bpermute_b32 v19, v136, v18
	v_cndmask_b32_e64 v18, -v18, v18, s34
	s_wait_dscnt 0x0
	s_delay_alu instid0(VALU_DEP_1) | instskip(SKIP_3) | instid1(VALU_DEP_1)
	v_add_f32_e32 v18, v18, v19
	ds_bpermute_b32 v19, v138, v18
	v_cndmask_b32_e64 v18, -v18, v18, s35
	s_wait_dscnt 0x0
	v_dual_add_f32 v18, v18, v19 :: v_dual_add_f32 v19, v107, v105
	ds_bpermute_b32 v20, v136, v19
	v_cndmask_b32_e64 v19, -v19, v19, s34
	s_wait_dscnt 0x0
	s_delay_alu instid0(VALU_DEP_1) | instskip(SKIP_3) | instid1(VALU_DEP_1)
	v_add_f32_e32 v19, v19, v20
	ds_bpermute_b32 v20, v138, v19
	v_cndmask_b32_e64 v19, -v19, v19, s35
	s_wait_dscnt 0x0
	v_add_f32_e32 v19, v19, v20
	ds_store_b128 v142, v[8:11] offset:8192
	ds_store_b128 v142, v[16:19] offset:12288
	ds_bpermute_b32 v8, v140, v101
	v_cndmask_b32_e64 v11, -v101, v101, s36
	ds_bpermute_b32 v9, v140, v102
	v_cndmask_b32_e64 v16, -v102, v102, s36
	;; [unrolled: 2-line block ×5, first 2 shown]
	v_cndmask_b32_e64 v98, -v99, v99, s36
	v_cndmask_b32_e64 v99, -v100, v100, s36
	s_wait_dscnt 0x3
	v_dual_add_f32 v8, v11, v8 :: v_dual_add_f32 v9, v16, v9
	s_wait_dscnt 0x2
	v_add_f32_e32 v10, v17, v10
	ds_bpermute_b32 v11, v136, v8
	v_cndmask_b32_e64 v8, -v8, v8, s34
	v_add_f32_e32 v17, v97, v21
	ds_bpermute_b32 v21, v140, v90
	s_wait_dscnt 0x1
	v_add_f32_e32 v8, v8, v11
	ds_bpermute_b32 v11, v136, v9
	v_cndmask_b32_e64 v9, -v9, v9, s34
	s_wait_dscnt 0x0
	s_delay_alu instid0(VALU_DEP_1)
	v_add_f32_e32 v9, v9, v11
	ds_bpermute_b32 v11, v138, v8
	v_cndmask_b32_e64 v8, -v8, v8, s35
	ds_bpermute_b32 v16, v138, v9
	v_cndmask_b32_e64 v9, -v9, v9, s35
	s_wait_dscnt 0x1
	v_add_f32_e32 v8, v8, v11
	ds_bpermute_b32 v11, v136, v10
	v_cndmask_b32_e64 v10, -v10, v10, s34
	s_wait_dscnt 0x0
	s_delay_alu instid0(VALU_DEP_1) | instskip(SKIP_3) | instid1(VALU_DEP_1)
	v_dual_add_f32 v9, v9, v16 :: v_dual_add_f32 v10, v10, v11
	ds_bpermute_b32 v11, v138, v10
	v_cndmask_b32_e64 v10, -v10, v10, s35
	s_wait_dscnt 0x0
	v_dual_add_f32 v10, v10, v11 :: v_dual_add_f32 v11, v19, v18
	ds_bpermute_b32 v16, v136, v11
	v_cndmask_b32_e64 v11, -v11, v11, s34
	s_wait_dscnt 0x0
	s_delay_alu instid0(VALU_DEP_1) | instskip(SKIP_3) | instid1(VALU_DEP_1)
	v_add_f32_e32 v11, v11, v16
	ds_bpermute_b32 v16, v138, v11
	v_cndmask_b32_e64 v11, -v11, v11, s35
	s_wait_dscnt 0x0
	v_add_f32_e32 v11, v11, v16
	v_add_f32_e32 v16, v23, v20
	ds_bpermute_b32 v23, v140, v91
	ds_bpermute_b32 v18, v136, v16
	v_cndmask_b32_e64 v16, -v16, v16, s34
	s_wait_dscnt 0x0
	s_delay_alu instid0(VALU_DEP_1) | instskip(SKIP_3) | instid1(VALU_DEP_1)
	v_add_f32_e32 v16, v16, v18
	ds_bpermute_b32 v18, v136, v17
	v_cndmask_b32_e64 v17, -v17, v17, s34
	s_wait_dscnt 0x0
	v_add_f32_e32 v17, v17, v18
	ds_bpermute_b32 v18, v138, v16
	v_cndmask_b32_e64 v16, -v16, v16, s35
	ds_bpermute_b32 v19, v138, v17
	v_cndmask_b32_e64 v17, -v17, v17, s35
	s_wait_dscnt 0x1
	v_add_f32_e32 v16, v16, v18
	v_add_f32_e32 v18, v98, v22
	v_cndmask_b32_e64 v22, -v89, v89, s36
	s_wait_dscnt 0x0
	v_add_f32_e32 v17, v17, v19
	ds_bpermute_b32 v19, v136, v18
	v_cndmask_b32_e64 v18, -v18, v18, s34
	s_wait_dscnt 0x0
	s_delay_alu instid0(VALU_DEP_1) | instskip(SKIP_3) | instid1(VALU_DEP_1)
	v_add_f32_e32 v18, v18, v19
	ds_bpermute_b32 v19, v138, v18
	v_cndmask_b32_e64 v18, -v18, v18, s35
	s_wait_dscnt 0x0
	v_dual_add_f32 v18, v18, v19 :: v_dual_add_f32 v19, v99, v24
	ds_bpermute_b32 v24, v140, v92
	ds_bpermute_b32 v20, v136, v19
	v_cndmask_b32_e64 v19, -v19, v19, s34
	s_wait_dscnt 0x0
	s_delay_alu instid0(VALU_DEP_1) | instskip(SKIP_3) | instid1(VALU_DEP_1)
	v_add_f32_e32 v19, v19, v20
	ds_bpermute_b32 v20, v138, v19
	v_cndmask_b32_e64 v19, -v19, v19, s35
	s_wait_dscnt 0x0
	v_add_f32_e32 v19, v19, v20
	ds_store_b128 v142, v[8:11] offset:16384
	ds_store_b128 v142, v[16:19] offset:20480
	ds_bpermute_b32 v8, v140, v93
	v_cndmask_b32_e64 v11, -v93, v93, s36
	ds_bpermute_b32 v9, v140, v94
	v_cndmask_b32_e64 v17, -v94, v94, s36
	ds_bpermute_b32 v10, v140, v95
	v_cndmask_b32_e64 v18, -v95, v95, s36
	ds_bpermute_b32 v16, v140, v96
	v_cndmask_b32_e64 v19, -v96, v96, s36
	ds_bpermute_b32 v20, v140, v89
	v_cndmask_b32_e64 v89, -v90, v90, s36
	v_cndmask_b32_e64 v90, -v91, v91, s36
	v_cndmask_b32_e64 v91, -v92, v92, s36
	s_wait_dscnt 0x3
	v_dual_add_f32 v8, v11, v8 :: v_dual_add_f32 v9, v17, v9
	s_wait_dscnt 0x2
	v_add_f32_e32 v10, v18, v10
	ds_bpermute_b32 v11, v136, v8
	v_cndmask_b32_e64 v8, -v8, v8, s34
	s_wait_dscnt 0x0
	s_delay_alu instid0(VALU_DEP_1) | instskip(SKIP_3) | instid1(VALU_DEP_1)
	v_add_f32_e32 v8, v8, v11
	ds_bpermute_b32 v11, v136, v9
	v_cndmask_b32_e64 v9, -v9, v9, s34
	s_wait_dscnt 0x0
	v_add_f32_e32 v9, v9, v11
	ds_bpermute_b32 v11, v138, v8
	v_cndmask_b32_e64 v8, -v8, v8, s35
	ds_bpermute_b32 v17, v138, v9
	v_cndmask_b32_e64 v9, -v9, v9, s35
	s_wait_dscnt 0x1
	v_add_f32_e32 v8, v8, v11
	ds_bpermute_b32 v11, v136, v10
	v_cndmask_b32_e64 v10, -v10, v10, s34
	s_wait_dscnt 0x1
	v_add_f32_e32 v9, v9, v17
	v_add_f32_e32 v17, v89, v21
	ds_bpermute_b32 v21, v140, v82
	s_wait_dscnt 0x1
	v_add_f32_e32 v10, v10, v11
	ds_bpermute_b32 v11, v138, v10
	v_cndmask_b32_e64 v10, -v10, v10, s35
	s_wait_dscnt 0x0
	s_delay_alu instid0(VALU_DEP_1) | instskip(SKIP_3) | instid1(VALU_DEP_1)
	v_dual_add_f32 v10, v10, v11 :: v_dual_add_f32 v11, v19, v16
	ds_bpermute_b32 v16, v136, v11
	v_cndmask_b32_e64 v11, -v11, v11, s34
	s_wait_dscnt 0x0
	v_add_f32_e32 v11, v11, v16
	ds_bpermute_b32 v16, v138, v11
	v_cndmask_b32_e64 v11, -v11, v11, s35
	s_wait_dscnt 0x0
	s_delay_alu instid0(VALU_DEP_1)
	v_add_f32_e32 v11, v11, v16
	v_add_f32_e32 v16, v22, v20
	ds_bpermute_b32 v22, v140, v83
	ds_bpermute_b32 v18, v136, v16
	v_cndmask_b32_e64 v16, -v16, v16, s34
	s_wait_dscnt 0x0
	s_delay_alu instid0(VALU_DEP_1) | instskip(SKIP_3) | instid1(VALU_DEP_1)
	v_add_f32_e32 v16, v16, v18
	ds_bpermute_b32 v18, v136, v17
	v_cndmask_b32_e64 v17, -v17, v17, s34
	s_wait_dscnt 0x0
	v_add_f32_e32 v17, v17, v18
	ds_bpermute_b32 v18, v138, v16
	v_cndmask_b32_e64 v16, -v16, v16, s35
	ds_bpermute_b32 v19, v138, v17
	v_cndmask_b32_e64 v17, -v17, v17, s35
	s_wait_dscnt 0x1
	v_add_f32_e32 v16, v16, v18
	v_add_f32_e32 v18, v90, v23
	v_cndmask_b32_e64 v23, -v81, v81, s36
	s_wait_dscnt 0x0
	v_add_f32_e32 v17, v17, v19
	ds_bpermute_b32 v19, v136, v18
	v_cndmask_b32_e64 v18, -v18, v18, s34
	s_wait_dscnt 0x0
	s_delay_alu instid0(VALU_DEP_1) | instskip(SKIP_3) | instid1(VALU_DEP_1)
	v_add_f32_e32 v18, v18, v19
	ds_bpermute_b32 v19, v138, v18
	v_cndmask_b32_e64 v18, -v18, v18, s35
	s_wait_dscnt 0x0
	v_dual_add_f32 v18, v18, v19 :: v_dual_add_f32 v19, v91, v24
	v_cndmask_b32_e64 v24, -v82, v82, s36
	ds_bpermute_b32 v82, v140, v84
	ds_bpermute_b32 v20, v136, v19
	v_cndmask_b32_e64 v19, -v19, v19, s34
	s_wait_dscnt 0x0
	s_delay_alu instid0(VALU_DEP_1) | instskip(SKIP_3) | instid1(VALU_DEP_1)
	v_add_f32_e32 v19, v19, v20
	ds_bpermute_b32 v20, v138, v19
	v_cndmask_b32_e64 v19, -v19, v19, s35
	s_wait_dscnt 0x0
	v_add_f32_e32 v19, v19, v20
	ds_store_b128 v142, v[8:11] offset:24576
	ds_store_b128 v142, v[16:19] offset:28672
	ds_bpermute_b32 v8, v140, v85
	v_cndmask_b32_e64 v10, -v85, v85, s36
	ds_bpermute_b32 v9, v140, v86
	v_cndmask_b32_e64 v11, -v86, v86, s36
	ds_bpermute_b32 v16, v140, v87
	v_cndmask_b32_e64 v18, -v87, v87, s36
	ds_bpermute_b32 v17, v140, v88
	v_cndmask_b32_e64 v19, -v88, v88, s36
	ds_bpermute_b32 v20, v140, v81
	v_cndmask_b32_e64 v81, -v83, v83, s36
	v_cndmask_b32_e64 v83, -v84, v84, s36
	s_wait_loadcnt_dscnt 0x0
	s_barrier_signal -1
	s_barrier_wait -1
	global_inv scope:SCOPE_SE
	v_dual_add_f32 v8, v10, v8 :: v_dual_add_f32 v9, v11, v9
	ds_bpermute_b32 v10, v136, v8
	v_cndmask_b32_e64 v8, -v8, v8, s34
	s_wait_dscnt 0x0
	s_delay_alu instid0(VALU_DEP_1) | instskip(SKIP_3) | instid1(VALU_DEP_1)
	v_add_f32_e32 v8, v8, v10
	ds_bpermute_b32 v10, v136, v9
	v_cndmask_b32_e64 v9, -v9, v9, s34
	s_wait_dscnt 0x0
	v_add_f32_e32 v9, v9, v10
	ds_bpermute_b32 v10, v138, v8
	v_cndmask_b32_e64 v8, -v8, v8, s35
	ds_bpermute_b32 v11, v138, v9
	v_cndmask_b32_e64 v9, -v9, v9, s35
	s_wait_dscnt 0x1
	v_dual_add_f32 v101, v8, v10 :: v_dual_add_f32 v8, v18, v16
	s_wait_dscnt 0x0
	s_delay_alu instid0(VALU_DEP_2) | instskip(SKIP_3) | instid1(VALU_DEP_1)
	v_add_f32_e32 v102, v9, v11
	ds_bpermute_b32 v9, v136, v8
	v_cndmask_b32_e64 v8, -v8, v8, s34
	s_wait_dscnt 0x0
	v_add_f32_e32 v8, v8, v9
	ds_bpermute_b32 v9, v138, v8
	v_cndmask_b32_e64 v8, -v8, v8, s35
	s_wait_dscnt 0x0
	s_delay_alu instid0(VALU_DEP_1) | instskip(SKIP_4) | instid1(VALU_DEP_1)
	v_add_f32_e32 v103, v8, v9
	v_add_f32_e32 v8, v19, v17
	ds_bpermute_b32 v9, v136, v8
	v_cndmask_b32_e64 v8, -v8, v8, s34
	s_wait_dscnt 0x0
	v_add_f32_e32 v8, v8, v9
	ds_bpermute_b32 v9, v138, v8
	v_cndmask_b32_e64 v8, -v8, v8, s35
	s_wait_dscnt 0x0
	s_delay_alu instid0(VALU_DEP_1)
	v_add_f32_e32 v104, v8, v9
	v_dual_add_f32 v8, v23, v20 :: v_dual_add_f32 v9, v24, v21
	ds_bpermute_b32 v24, v140, v77
	v_cndmask_b32_e64 v77, -v77, v77, s36
	ds_bpermute_b32 v10, v136, v8
	v_cndmask_b32_e64 v8, -v8, v8, s34
	s_wait_dscnt 0x1
	v_add_f32_e32 v24, v77, v24
	s_wait_dscnt 0x0
	s_delay_alu instid0(VALU_DEP_2) | instskip(SKIP_3) | instid1(VALU_DEP_1)
	v_add_f32_e32 v8, v8, v10
	ds_bpermute_b32 v10, v136, v9
	v_cndmask_b32_e64 v9, -v9, v9, s34
	s_wait_dscnt 0x0
	v_add_f32_e32 v9, v9, v10
	ds_bpermute_b32 v10, v138, v8
	v_cndmask_b32_e64 v8, -v8, v8, s35
	ds_bpermute_b32 v11, v138, v9
	v_cndmask_b32_e64 v9, -v9, v9, s35
	s_wait_dscnt 0x1
	v_add_f32_e32 v105, v8, v10
	v_add_f32_e32 v8, v81, v22
	s_wait_dscnt 0x0
	v_add_f32_e32 v106, v9, v11
	ds_bpermute_b32 v9, v136, v8
	v_cndmask_b32_e64 v8, -v8, v8, s34
	s_wait_dscnt 0x0
	s_delay_alu instid0(VALU_DEP_1) | instskip(SKIP_3) | instid1(VALU_DEP_1)
	v_add_f32_e32 v8, v8, v9
	ds_bpermute_b32 v9, v138, v8
	v_cndmask_b32_e64 v8, -v8, v8, s35
	s_wait_dscnt 0x0
	v_dual_add_f32 v107, v8, v9 :: v_dual_add_f32 v8, v83, v82
	ds_bpermute_b32 v9, v136, v8
	v_cndmask_b32_e64 v8, -v8, v8, s34
	s_wait_dscnt 0x0
	s_delay_alu instid0(VALU_DEP_1) | instskip(SKIP_3) | instid1(VALU_DEP_1)
	v_add_f32_e32 v8, v8, v9
	ds_bpermute_b32 v9, v138, v8
	v_cndmask_b32_e64 v8, -v8, v8, s35
	s_wait_dscnt 0x0
	v_add_f32_e32 v108, v8, v9
	ds_load_b128 v[93:96], v134
	ds_load_b128 v[97:100], v134 offset:4096
	ds_load_b128 v[85:88], v134 offset:8192
	;; [unrolled: 1-line block ×7, first 2 shown]
	s_wait_loadcnt_dscnt 0x0
	s_barrier_signal -1
	s_barrier_wait -1
	global_inv scope:SCOPE_SE
	ds_store_b128 v142, v[101:104]
	ds_store_b128 v142, v[105:108] offset:4096
	ds_bpermute_b32 v101, v140, v78
	ds_bpermute_b32 v105, v140, v74
	;; [unrolled: 1-line block ×3, first 2 shown]
	v_cndmask_b32_e64 v78, -v78, v78, s36
	ds_bpermute_b32 v104, v140, v73
	v_cndmask_b32_e64 v107, -v73, v73, s36
	v_cndmask_b32_e64 v24, -v24, v24, s34
	ds_bpermute_b32 v102, v140, v79
	ds_bpermute_b32 v106, v140, v75
	v_cndmask_b32_e64 v79, -v79, v79, s36
	ds_bpermute_b32 v108, v140, v76
	ds_bpermute_b32 v103, v140, v80
	v_cndmask_b32_e64 v80, -v80, v80, s36
	v_add_f32_e32 v216, v93, v97
	v_add_f32_e32 v220, v85, v89
	v_add_f32_e32 v224, v20, v81
	v_dual_add_f32 v228, v8, v16 :: v_dual_add_f32 v217, v94, v98
	v_add_f32_e32 v221, v86, v90
	v_add_f32_e32 v225, v21, v82
	s_wait_dscnt 0x7
	v_add_f32_e32 v73, v78, v101
	s_wait_dscnt 0x5
	v_dual_add_f32 v77, v109, v105 :: v_dual_add_f32 v24, v24, v74
	ds_bpermute_b32 v101, v140, v68
	v_cndmask_b32_e64 v109, -v43, v43, s36
	ds_bpermute_b32 v74, v136, v73
	v_cndmask_b32_e64 v73, -v73, v73, s34
	v_dual_add_f32 v229, v9, v17 :: v_dual_add_f32 v184, v216, v220
	v_add_f32_e32 v188, v224, v228
	v_add_f32_e32 v218, v95, v99
	;; [unrolled: 1-line block ×4, first 2 shown]
	v_dual_add_f32 v230, v10, v18 :: v_dual_add_f32 v185, v217, v221
	v_add_f32_e32 v189, v225, v229
	v_add_f32_e32 v219, v96, v100
	v_add_f32_e32 v223, v88, v92
	v_add_f32_e32 v227, v23, v84
	v_dual_add_f32 v231, v11, v19 :: v_dual_add_f32 v186, v218, v222
	s_delay_alu instid0(VALU_DEP_3) | instskip(NEXT) | instid1(VALU_DEP_2)
	v_dual_add_f32 v190, v226, v230 :: v_dual_add_f32 v187, v219, v223
	v_add_f32_e32 v191, v227, v231
	s_wait_dscnt 0x0
	v_add_f32_e32 v73, v73, v74
	ds_bpermute_b32 v74, v138, v24
	v_cndmask_b32_e64 v24, -v24, v24, s35
	ds_bpermute_b32 v75, v138, v73
	v_cndmask_b32_e64 v76, -v73, v73, s35
	s_wait_dscnt 0x1
	v_add_f32_e32 v73, v24, v74
	v_add_f32_e32 v24, v79, v102
	v_cndmask_b32_e64 v102, -v67, v67, s36
	s_wait_dscnt 0x0
	v_add_f32_e32 v74, v76, v75
	ds_bpermute_b32 v75, v136, v24
	v_cndmask_b32_e64 v24, -v24, v24, s34
	s_wait_dscnt 0x0
	s_delay_alu instid0(VALU_DEP_1) | instskip(SKIP_3) | instid1(VALU_DEP_1)
	v_add_f32_e32 v24, v24, v75
	ds_bpermute_b32 v75, v138, v24
	v_cndmask_b32_e64 v24, -v24, v24, s35
	s_wait_dscnt 0x0
	v_add_f32_e32 v75, v24, v75
	v_add_f32_e32 v24, v80, v103
	v_cndmask_b32_e64 v103, -v68, v68, s36
	ds_bpermute_b32 v76, v136, v24
	v_cndmask_b32_e64 v24, -v24, v24, s34
	s_wait_dscnt 0x0
	s_delay_alu instid0(VALU_DEP_1) | instskip(SKIP_3) | instid1(VALU_DEP_1)
	v_add_f32_e32 v24, v24, v76
	ds_bpermute_b32 v76, v138, v24
	v_cndmask_b32_e64 v24, -v24, v24, s35
	s_wait_dscnt 0x0
	v_add_f32_e32 v76, v24, v76
	v_add_f32_e32 v24, v107, v104
	ds_bpermute_b32 v78, v136, v24
	v_cndmask_b32_e64 v24, -v24, v24, s34
	s_wait_dscnt 0x0
	s_delay_alu instid0(VALU_DEP_1) | instskip(SKIP_3) | instid1(VALU_DEP_1)
	v_add_f32_e32 v24, v24, v78
	ds_bpermute_b32 v78, v136, v77
	v_cndmask_b32_e64 v77, -v77, v77, s34
	s_wait_dscnt 0x0
	v_add_f32_e32 v77, v77, v78
	ds_bpermute_b32 v78, v138, v24
	v_cndmask_b32_e64 v24, -v24, v24, s35
	ds_bpermute_b32 v79, v138, v77
	v_cndmask_b32_e64 v80, -v77, v77, s35
	s_wait_dscnt 0x1
	v_add_f32_e32 v77, v24, v78
	v_add_f32_e32 v24, v110, v106
	ds_bpermute_b32 v110, v140, v44
	s_wait_dscnt 0x1
	v_add_f32_e32 v78, v80, v79
	ds_bpermute_b32 v79, v136, v24
	v_cndmask_b32_e64 v24, -v24, v24, s34
	s_wait_dscnt 0x0
	s_delay_alu instid0(VALU_DEP_1) | instskip(SKIP_3) | instid1(VALU_DEP_1)
	v_add_f32_e32 v24, v24, v79
	ds_bpermute_b32 v79, v138, v24
	v_cndmask_b32_e64 v24, -v24, v24, s35
	s_wait_dscnt 0x0
	v_dual_add_f32 v79, v24, v79 :: v_dual_add_f32 v24, v111, v108
	v_cndmask_b32_e64 v111, -v44, v44, s36
	ds_bpermute_b32 v80, v136, v24
	v_cndmask_b32_e64 v24, -v24, v24, s34
	s_wait_dscnt 0x0
	s_delay_alu instid0(VALU_DEP_1) | instskip(SKIP_3) | instid1(VALU_DEP_1)
	v_add_f32_e32 v24, v24, v80
	ds_bpermute_b32 v80, v138, v24
	v_cndmask_b32_e64 v24, -v24, v24, s35
	s_wait_dscnt 0x0
	v_add_f32_e32 v80, v24, v80
	ds_bpermute_b32 v24, v140, v69
	v_cndmask_b32_e64 v69, -v69, v69, s36
	ds_store_b128 v142, v[73:76] offset:8192
	ds_store_b128 v142, v[77:80] offset:12288
	ds_bpermute_b32 v73, v140, v70
	ds_bpermute_b32 v77, v140, v66
	v_cndmask_b32_e64 v79, -v66, v66, s36
	v_cndmask_b32_e64 v70, -v70, v70, s36
	ds_bpermute_b32 v76, v140, v65
	v_cndmask_b32_e64 v78, -v65, v65, s36
	ds_bpermute_b32 v74, v140, v71
	ds_bpermute_b32 v80, v140, v67
	v_cndmask_b32_e64 v71, -v71, v71, s36
	ds_bpermute_b32 v75, v140, v72
	v_cndmask_b32_e64 v72, -v72, v72, s36
	s_wait_dscnt 0x5
	v_dual_add_f32 v24, v69, v24 :: v_dual_add_f32 v65, v70, v73
	ds_bpermute_b32 v66, v136, v24
	v_cndmask_b32_e64 v24, -v24, v24, s34
	s_wait_dscnt 0x5
	v_add_f32_e32 v69, v79, v77
	v_cndmask_b32_e64 v73, -v58, v58, s36
	s_wait_dscnt 0x0
	v_add_f32_e32 v24, v24, v66
	ds_bpermute_b32 v66, v136, v65
	v_cndmask_b32_e64 v65, -v65, v65, s34
	s_wait_dscnt 0x0
	s_delay_alu instid0(VALU_DEP_1)
	v_add_f32_e32 v65, v65, v66
	ds_bpermute_b32 v66, v138, v24
	v_cndmask_b32_e64 v24, -v24, v24, s35
	ds_bpermute_b32 v67, v138, v65
	v_cndmask_b32_e64 v68, -v65, v65, s35
	s_wait_dscnt 0x1
	v_add_f32_e32 v65, v24, v66
	v_add_f32_e32 v24, v71, v74
	v_cndmask_b32_e64 v74, -v59, v59, s36
	s_wait_dscnt 0x0
	v_add_f32_e32 v66, v68, v67
	ds_bpermute_b32 v67, v136, v24
	v_cndmask_b32_e64 v24, -v24, v24, s34
	s_wait_dscnt 0x0
	s_delay_alu instid0(VALU_DEP_1) | instskip(SKIP_3) | instid1(VALU_DEP_1)
	v_add_f32_e32 v24, v24, v67
	ds_bpermute_b32 v67, v138, v24
	v_cndmask_b32_e64 v24, -v24, v24, s35
	s_wait_dscnt 0x0
	v_add_f32_e32 v67, v24, v67
	v_add_f32_e32 v24, v72, v75
	v_cndmask_b32_e64 v75, -v60, v60, s36
	ds_bpermute_b32 v68, v136, v24
	v_cndmask_b32_e64 v24, -v24, v24, s34
	s_wait_dscnt 0x0
	s_delay_alu instid0(VALU_DEP_1) | instskip(SKIP_3) | instid1(VALU_DEP_1)
	v_add_f32_e32 v24, v24, v68
	ds_bpermute_b32 v68, v138, v24
	v_cndmask_b32_e64 v24, -v24, v24, s35
	s_wait_dscnt 0x0
	v_add_f32_e32 v68, v24, v68
	v_add_f32_e32 v24, v78, v76
	ds_bpermute_b32 v70, v136, v24
	v_cndmask_b32_e64 v24, -v24, v24, s34
	s_wait_dscnt 0x0
	s_delay_alu instid0(VALU_DEP_1) | instskip(SKIP_3) | instid1(VALU_DEP_1)
	v_add_f32_e32 v24, v24, v70
	ds_bpermute_b32 v70, v136, v69
	v_cndmask_b32_e64 v69, -v69, v69, s34
	s_wait_dscnt 0x0
	v_add_f32_e32 v69, v69, v70
	ds_bpermute_b32 v70, v138, v24
	v_cndmask_b32_e64 v24, -v24, v24, s35
	ds_bpermute_b32 v71, v138, v69
	v_cndmask_b32_e64 v72, -v69, v69, s35
	s_wait_dscnt 0x1
	v_dual_add_f32 v69, v24, v70 :: v_dual_add_f32 v24, v102, v80
	s_wait_dscnt 0x0
	s_delay_alu instid0(VALU_DEP_2) | instskip(SKIP_3) | instid1(VALU_DEP_1)
	v_add_f32_e32 v70, v72, v71
	ds_bpermute_b32 v71, v136, v24
	v_cndmask_b32_e64 v24, -v24, v24, s34
	s_wait_dscnt 0x0
	v_add_f32_e32 v24, v24, v71
	ds_bpermute_b32 v71, v138, v24
	v_cndmask_b32_e64 v24, -v24, v24, s35
	s_wait_dscnt 0x0
	s_delay_alu instid0(VALU_DEP_1) | instskip(SKIP_3) | instid1(VALU_DEP_1)
	v_dual_add_f32 v71, v24, v71 :: v_dual_add_f32 v24, v103, v101
	ds_bpermute_b32 v72, v136, v24
	v_cndmask_b32_e64 v24, -v24, v24, s34
	s_wait_dscnt 0x0
	v_add_f32_e32 v24, v24, v72
	ds_bpermute_b32 v72, v138, v24
	v_cndmask_b32_e64 v24, -v24, v24, s35
	s_wait_dscnt 0x0
	s_delay_alu instid0(VALU_DEP_1)
	v_add_f32_e32 v72, v24, v72
	ds_bpermute_b32 v24, v140, v61
	v_cndmask_b32_e64 v61, -v61, v61, s36
	ds_store_b128 v142, v[65:68] offset:16384
	ds_store_b128 v142, v[69:72] offset:20480
	ds_bpermute_b32 v65, v140, v62
	ds_bpermute_b32 v69, v140, v58
	v_cndmask_b32_e64 v62, -v62, v62, s36
	ds_bpermute_b32 v68, v140, v57
	v_cndmask_b32_e64 v71, -v57, v57, s36
	ds_bpermute_b32 v66, v140, v63
	ds_bpermute_b32 v70, v140, v59
	v_cndmask_b32_e64 v63, -v63, v63, s36
	ds_bpermute_b32 v72, v140, v60
	ds_bpermute_b32 v67, v140, v64
	v_cndmask_b32_e64 v64, -v64, v64, s36
	s_wait_dscnt 0x6
	v_dual_add_f32 v24, v61, v24 :: v_dual_add_f32 v57, v62, v65
	ds_bpermute_b32 v58, v136, v24
	v_cndmask_b32_e64 v24, -v24, v24, s34
	s_wait_dscnt 0x0
	s_delay_alu instid0(VALU_DEP_1) | instskip(SKIP_3) | instid1(VALU_DEP_1)
	v_dual_add_f32 v61, v73, v69 :: v_dual_add_f32 v24, v24, v58
	ds_bpermute_b32 v58, v136, v57
	v_cndmask_b32_e64 v57, -v57, v57, s34
	s_wait_dscnt 0x0
	v_add_f32_e32 v57, v57, v58
	ds_bpermute_b32 v58, v138, v24
	v_cndmask_b32_e64 v24, -v24, v24, s35
	ds_bpermute_b32 v59, v138, v57
	v_cndmask_b32_e64 v60, -v57, v57, s35
	s_wait_dscnt 0x1
	v_add_f32_e32 v57, v24, v58
	v_add_f32_e32 v24, v63, v66
	s_wait_dscnt 0x0
	v_add_f32_e32 v58, v60, v59
	ds_bpermute_b32 v59, v136, v24
	v_cndmask_b32_e64 v24, -v24, v24, s34
	s_wait_dscnt 0x0
	s_delay_alu instid0(VALU_DEP_1) | instskip(SKIP_3) | instid1(VALU_DEP_1)
	v_add_f32_e32 v24, v24, v59
	ds_bpermute_b32 v59, v138, v24
	v_cndmask_b32_e64 v24, -v24, v24, s35
	s_wait_dscnt 0x0
	v_add_f32_e32 v59, v24, v59
	v_add_f32_e32 v24, v64, v67
	ds_bpermute_b32 v60, v136, v24
	v_cndmask_b32_e64 v24, -v24, v24, s34
	s_wait_dscnt 0x0
	s_delay_alu instid0(VALU_DEP_1) | instskip(SKIP_3) | instid1(VALU_DEP_1)
	v_add_f32_e32 v24, v24, v60
	ds_bpermute_b32 v60, v138, v24
	v_cndmask_b32_e64 v24, -v24, v24, s35
	s_wait_dscnt 0x0
	v_add_f32_e32 v60, v24, v60
	;; [unrolled: 10-line block ×3, first 2 shown]
	ds_bpermute_b32 v62, v138, v24
	v_cndmask_b32_e64 v24, -v24, v24, s35
	ds_bpermute_b32 v63, v138, v61
	v_cndmask_b32_e64 v64, -v61, v61, s35
	s_wait_dscnt 0x1
	v_add_f32_e32 v61, v24, v62
	v_add_f32_e32 v24, v74, v70
	s_wait_dscnt 0x0
	v_add_f32_e32 v62, v64, v63
	ds_bpermute_b32 v63, v136, v24
	v_cndmask_b32_e64 v24, -v24, v24, s34
	s_wait_dscnt 0x0
	s_delay_alu instid0(VALU_DEP_1) | instskip(SKIP_3) | instid1(VALU_DEP_1)
	v_add_f32_e32 v24, v24, v63
	ds_bpermute_b32 v63, v138, v24
	v_cndmask_b32_e64 v24, -v24, v24, s35
	s_wait_dscnt 0x0
	v_dual_add_f32 v63, v24, v63 :: v_dual_add_f32 v24, v75, v72
	ds_bpermute_b32 v64, v136, v24
	v_cndmask_b32_e64 v24, -v24, v24, s34
	s_wait_dscnt 0x0
	s_delay_alu instid0(VALU_DEP_1) | instskip(SKIP_3) | instid1(VALU_DEP_1)
	v_add_f32_e32 v24, v24, v64
	ds_bpermute_b32 v64, v138, v24
	v_cndmask_b32_e64 v24, -v24, v24, s35
	s_wait_dscnt 0x0
	v_add_f32_e32 v64, v24, v64
	ds_bpermute_b32 v24, v140, v53
	ds_store_b128 v142, v[57:60] offset:24576
	ds_store_b128 v142, v[61:64] offset:28672
	ds_bpermute_b32 v57, v140, v54
	v_cndmask_b32_e64 v53, -v53, v53, s36
	v_cndmask_b32_e64 v54, -v54, v54, s36
	ds_bpermute_b32 v58, v140, v55
	v_cndmask_b32_e64 v55, -v55, v55, s36
	ds_bpermute_b32 v59, v140, v56
	;; [unrolled: 2-line block ×3, first 2 shown]
	ds_bpermute_b32 v61, v140, v50
	v_cndmask_b32_e64 v49, -v49, v49, s36
	v_cndmask_b32_e64 v50, -v50, v50, s36
	ds_bpermute_b32 v62, v140, v51
	v_cndmask_b32_e64 v51, -v51, v51, s36
	ds_bpermute_b32 v63, v140, v52
	v_cndmask_b32_e64 v52, -v52, v52, s36
	s_wait_loadcnt_dscnt 0x0
	v_add_f32_e32 v24, v53, v24
	s_barrier_signal -1
	s_barrier_wait -1
	global_inv scope:SCOPE_SE
	v_add_f32_e32 v53, v54, v57
	ds_bpermute_b32 v54, v136, v24
	v_cndmask_b32_e64 v24, -v24, v24, s34
	s_wait_dscnt 0x0
	s_delay_alu instid0(VALU_DEP_1) | instskip(SKIP_3) | instid1(VALU_DEP_1)
	v_add_f32_e32 v24, v24, v54
	ds_bpermute_b32 v54, v136, v53
	v_cndmask_b32_e64 v53, -v53, v53, s34
	s_wait_dscnt 0x0
	v_add_f32_e32 v53, v53, v54
	ds_bpermute_b32 v54, v138, v24
	v_cndmask_b32_e64 v24, -v24, v24, s35
	ds_bpermute_b32 v57, v138, v53
	v_cndmask_b32_e64 v53, -v53, v53, s35
	s_wait_dscnt 0x1
	v_add_f32_e32 v101, v24, v54
	v_add_f32_e32 v24, v55, v58
	s_wait_dscnt 0x0
	v_add_f32_e32 v102, v53, v57
	ds_bpermute_b32 v53, v136, v24
	v_cndmask_b32_e64 v24, -v24, v24, s34
	s_wait_dscnt 0x0
	s_delay_alu instid0(VALU_DEP_1) | instskip(SKIP_3) | instid1(VALU_DEP_1)
	v_add_f32_e32 v24, v24, v53
	ds_bpermute_b32 v53, v138, v24
	v_cndmask_b32_e64 v24, -v24, v24, s35
	s_wait_dscnt 0x0
	v_add_f32_e32 v103, v24, v53
	v_add_f32_e32 v24, v56, v59
	ds_bpermute_b32 v53, v136, v24
	v_cndmask_b32_e64 v24, -v24, v24, s34
	s_wait_dscnt 0x0
	s_delay_alu instid0(VALU_DEP_1) | instskip(SKIP_3) | instid1(VALU_DEP_1)
	v_add_f32_e32 v24, v24, v53
	ds_bpermute_b32 v53, v138, v24
	v_cndmask_b32_e64 v24, -v24, v24, s35
	s_wait_dscnt 0x0
	v_add_f32_e32 v104, v24, v53
	v_dual_add_f32 v24, v49, v60 :: v_dual_add_f32 v49, v50, v61
	ds_bpermute_b32 v50, v136, v24
	v_cndmask_b32_e64 v24, -v24, v24, s34
	s_wait_dscnt 0x0
	s_delay_alu instid0(VALU_DEP_1) | instskip(SKIP_3) | instid1(VALU_DEP_1)
	v_add_f32_e32 v24, v24, v50
	ds_bpermute_b32 v50, v136, v49
	v_cndmask_b32_e64 v49, -v49, v49, s34
	s_wait_dscnt 0x0
	v_add_f32_e32 v49, v49, v50
	ds_bpermute_b32 v50, v138, v24
	v_cndmask_b32_e64 v24, -v24, v24, s35
	ds_bpermute_b32 v53, v138, v49
	v_cndmask_b32_e64 v49, -v49, v49, s35
	s_wait_dscnt 0x1
	v_add_f32_e32 v105, v24, v50
	v_add_f32_e32 v24, v51, v62
	s_wait_dscnt 0x0
	v_add_f32_e32 v106, v49, v53
	ds_bpermute_b32 v49, v136, v24
	v_cndmask_b32_e64 v24, -v24, v24, s34
	s_wait_dscnt 0x0
	s_delay_alu instid0(VALU_DEP_1) | instskip(SKIP_3) | instid1(VALU_DEP_1)
	v_add_f32_e32 v24, v24, v49
	ds_bpermute_b32 v49, v138, v24
	v_cndmask_b32_e64 v24, -v24, v24, s35
	s_wait_dscnt 0x0
	v_add_f32_e32 v107, v24, v49
	v_add_f32_e32 v24, v52, v63
	ds_bpermute_b32 v49, v136, v24
	v_cndmask_b32_e64 v24, -v24, v24, s34
	s_wait_dscnt 0x0
	s_delay_alu instid0(VALU_DEP_1) | instskip(SKIP_3) | instid1(VALU_DEP_1)
	v_add_f32_e32 v24, v24, v49
	ds_bpermute_b32 v49, v138, v24
	v_cndmask_b32_e64 v24, -v24, v24, s35
	s_wait_dscnt 0x0
	v_add_f32_e32 v108, v24, v49
	ds_bpermute_b32 v24, v140, v45
	v_cndmask_b32_e64 v45, -v45, v45, s36
	ds_load_b128 v[73:76], v134
	ds_load_b128 v[77:80], v134 offset:4096
	ds_load_b128 v[65:68], v134 offset:8192
	;; [unrolled: 1-line block ×7, first 2 shown]
	s_wait_loadcnt_dscnt 0x0
	s_barrier_signal -1
	s_barrier_wait -1
	global_inv scope:SCOPE_SE
	ds_store_b128 v142, v[101:104]
	ds_store_b128 v142, v[105:108] offset:4096
	ds_bpermute_b32 v101, v140, v46
	ds_bpermute_b32 v105, v140, v42
	v_cndmask_b32_e64 v108, -v42, v42, s36
	v_cndmask_b32_e64 v46, -v46, v46, s36
	ds_bpermute_b32 v104, v140, v41
	v_cndmask_b32_e64 v107, -v41, v41, s36
	ds_bpermute_b32 v102, v140, v47
	ds_bpermute_b32 v106, v140, v43
	v_cndmask_b32_e64 v47, -v47, v47, s36
	ds_bpermute_b32 v103, v140, v48
	v_cndmask_b32_e64 v48, -v48, v48, s36
	v_add_f32_e32 v232, v73, v77
	v_add_f32_e32 v24, v45, v24
	;; [unrolled: 1-line block ×4, first 2 shown]
	v_dual_add_f32 v244, v49, v53 :: v_dual_add_f32 v233, v74, v78
	ds_bpermute_b32 v42, v136, v24
	v_cndmask_b32_e64 v24, -v24, v24, s34
	v_add_f32_e32 v237, v66, v70
	s_wait_dscnt 0x6
	v_add_f32_e32 v41, v46, v101
	s_wait_dscnt 0x5
	v_add_f32_e32 v45, v108, v105
	v_cndmask_b32_e64 v101, -v34, v34, s36
	v_add_f32_e32 v241, v58, v62
	v_dual_add_f32 v245, v50, v54 :: v_dual_add_f32 v192, v232, v236
	v_add_f32_e32 v196, v240, v244
	v_add_f32_e32 v234, v75, v79
	;; [unrolled: 1-line block ×4, first 2 shown]
	v_dual_add_f32 v246, v51, v55 :: v_dual_add_f32 v193, v233, v237
	v_dual_add_f32 v197, v241, v245 :: v_dual_add_f32 v148, v192, v196
	v_add_f32_e32 v235, v76, v80
	v_add_f32_e32 v239, v68, v72
	;; [unrolled: 1-line block ×3, first 2 shown]
	s_wait_dscnt 0x0
	v_add_f32_e32 v24, v24, v42
	ds_bpermute_b32 v42, v136, v41
	v_cndmask_b32_e64 v41, -v41, v41, s34
	v_dual_add_f32 v247, v52, v56 :: v_dual_add_f32 v194, v234, v238
	v_add_f32_e32 v198, v242, v246
	v_dual_add_f32 v150, v193, v197 :: v_dual_add_f32 v195, v235, v239
	s_delay_alu instid0(VALU_DEP_2) | instskip(SKIP_1) | instid1(VALU_DEP_1)
	v_dual_add_f32 v199, v243, v247 :: v_dual_add_f32 v152, v194, v198
	s_wait_dscnt 0x0
	v_dual_add_f32 v154, v195, v199 :: v_dual_add_f32 v41, v41, v42
	ds_bpermute_b32 v42, v138, v24
	v_cndmask_b32_e64 v24, -v24, v24, s35
	ds_bpermute_b32 v43, v138, v41
	v_cndmask_b32_e64 v44, -v41, v41, s35
	s_wait_dscnt 0x1
	v_add_f32_e32 v41, v24, v42
	v_add_f32_e32 v24, v47, v102
	v_cndmask_b32_e64 v102, -v35, v35, s36
	s_wait_dscnt 0x0
	v_add_f32_e32 v42, v44, v43
	ds_bpermute_b32 v43, v136, v24
	v_cndmask_b32_e64 v24, -v24, v24, s34
	s_wait_dscnt 0x0
	s_delay_alu instid0(VALU_DEP_1) | instskip(SKIP_3) | instid1(VALU_DEP_1)
	v_add_f32_e32 v24, v24, v43
	ds_bpermute_b32 v43, v138, v24
	v_cndmask_b32_e64 v24, -v24, v24, s35
	s_wait_dscnt 0x0
	v_add_f32_e32 v43, v24, v43
	v_add_f32_e32 v24, v48, v103
	v_cndmask_b32_e64 v103, -v36, v36, s36
	ds_bpermute_b32 v44, v136, v24
	v_cndmask_b32_e64 v24, -v24, v24, s34
	s_wait_dscnt 0x0
	s_delay_alu instid0(VALU_DEP_1) | instskip(SKIP_3) | instid1(VALU_DEP_1)
	v_add_f32_e32 v24, v24, v44
	ds_bpermute_b32 v44, v138, v24
	v_cndmask_b32_e64 v24, -v24, v24, s35
	s_wait_dscnt 0x0
	v_add_f32_e32 v44, v24, v44
	v_add_f32_e32 v24, v107, v104
	ds_bpermute_b32 v46, v136, v24
	v_cndmask_b32_e64 v24, -v24, v24, s34
	s_wait_dscnt 0x0
	s_delay_alu instid0(VALU_DEP_1) | instskip(SKIP_3) | instid1(VALU_DEP_1)
	v_add_f32_e32 v24, v24, v46
	ds_bpermute_b32 v46, v136, v45
	v_cndmask_b32_e64 v45, -v45, v45, s34
	s_wait_dscnt 0x0
	v_add_f32_e32 v45, v45, v46
	ds_bpermute_b32 v46, v138, v24
	v_cndmask_b32_e64 v24, -v24, v24, s35
	ds_bpermute_b32 v47, v138, v45
	v_cndmask_b32_e64 v48, -v45, v45, s35
	s_wait_dscnt 0x1
	v_add_f32_e32 v45, v24, v46
	v_add_f32_e32 v24, v109, v106
	s_wait_dscnt 0x0
	v_add_f32_e32 v46, v48, v47
	ds_bpermute_b32 v47, v136, v24
	v_cndmask_b32_e64 v24, -v24, v24, s34
	s_wait_dscnt 0x0
	s_delay_alu instid0(VALU_DEP_1) | instskip(SKIP_3) | instid1(VALU_DEP_1)
	v_add_f32_e32 v24, v24, v47
	ds_bpermute_b32 v47, v138, v24
	v_cndmask_b32_e64 v24, -v24, v24, s35
	s_wait_dscnt 0x0
	v_dual_add_f32 v47, v24, v47 :: v_dual_add_f32 v24, v111, v110
	ds_bpermute_b32 v48, v136, v24
	v_cndmask_b32_e64 v24, -v24, v24, s34
	s_wait_dscnt 0x0
	s_delay_alu instid0(VALU_DEP_1) | instskip(SKIP_3) | instid1(VALU_DEP_1)
	v_add_f32_e32 v24, v24, v48
	ds_bpermute_b32 v48, v138, v24
	v_cndmask_b32_e64 v24, -v24, v24, s35
	s_wait_dscnt 0x0
	v_add_f32_e32 v48, v24, v48
	ds_bpermute_b32 v24, v140, v37
	v_cndmask_b32_e64 v37, -v37, v37, s36
	ds_store_b128 v142, v[41:44] offset:8192
	ds_store_b128 v142, v[45:48] offset:12288
	ds_bpermute_b32 v41, v140, v38
	ds_bpermute_b32 v45, v140, v34
	v_cndmask_b32_e64 v38, -v38, v38, s36
	ds_bpermute_b32 v44, v140, v33
	v_cndmask_b32_e64 v47, -v33, v33, s36
	ds_bpermute_b32 v42, v140, v39
	ds_bpermute_b32 v46, v140, v35
	v_cndmask_b32_e64 v39, -v39, v39, s36
	ds_bpermute_b32 v48, v140, v36
	ds_bpermute_b32 v43, v140, v40
	v_cndmask_b32_e64 v40, -v40, v40, s36
	s_wait_dscnt 0x6
	v_dual_add_f32 v24, v37, v24 :: v_dual_add_f32 v33, v38, v41
	ds_bpermute_b32 v34, v136, v24
	v_cndmask_b32_e64 v24, -v24, v24, s34
	s_wait_dscnt 0x6
	v_add_f32_e32 v37, v101, v45
	ds_bpermute_b32 v41, v140, v28
	s_wait_dscnt 0x1
	v_add_f32_e32 v24, v24, v34
	ds_bpermute_b32 v34, v136, v33
	v_cndmask_b32_e64 v33, -v33, v33, s34
	s_wait_dscnt 0x0
	s_delay_alu instid0(VALU_DEP_1)
	v_add_f32_e32 v33, v33, v34
	ds_bpermute_b32 v34, v138, v24
	v_cndmask_b32_e64 v24, -v24, v24, s35
	ds_bpermute_b32 v35, v138, v33
	v_cndmask_b32_e64 v36, -v33, v33, s35
	s_wait_dscnt 0x1
	v_add_f32_e32 v33, v24, v34
	v_add_f32_e32 v24, v39, v42
	v_cndmask_b32_e64 v42, -v27, v27, s36
	s_wait_dscnt 0x0
	v_add_f32_e32 v34, v36, v35
	ds_bpermute_b32 v35, v136, v24
	v_cndmask_b32_e64 v24, -v24, v24, s34
	s_wait_dscnt 0x0
	s_delay_alu instid0(VALU_DEP_1) | instskip(SKIP_3) | instid1(VALU_DEP_1)
	v_add_f32_e32 v24, v24, v35
	ds_bpermute_b32 v35, v138, v24
	v_cndmask_b32_e64 v24, -v24, v24, s35
	s_wait_dscnt 0x0
	v_add_f32_e32 v35, v24, v35
	v_add_f32_e32 v24, v40, v43
	v_cndmask_b32_e64 v43, -v28, v28, s36
	ds_bpermute_b32 v36, v136, v24
	v_cndmask_b32_e64 v24, -v24, v24, s34
	s_wait_dscnt 0x0
	s_delay_alu instid0(VALU_DEP_1) | instskip(SKIP_3) | instid1(VALU_DEP_1)
	v_add_f32_e32 v24, v24, v36
	ds_bpermute_b32 v36, v138, v24
	v_cndmask_b32_e64 v24, -v24, v24, s35
	s_wait_dscnt 0x0
	v_add_f32_e32 v36, v24, v36
	v_add_f32_e32 v24, v47, v44
	ds_bpermute_b32 v38, v136, v24
	v_cndmask_b32_e64 v24, -v24, v24, s34
	s_wait_dscnt 0x0
	s_delay_alu instid0(VALU_DEP_1) | instskip(SKIP_3) | instid1(VALU_DEP_1)
	v_add_f32_e32 v24, v24, v38
	ds_bpermute_b32 v38, v136, v37
	v_cndmask_b32_e64 v37, -v37, v37, s34
	s_wait_dscnt 0x0
	v_add_f32_e32 v37, v37, v38
	ds_bpermute_b32 v38, v138, v24
	v_cndmask_b32_e64 v24, -v24, v24, s35
	ds_bpermute_b32 v39, v138, v37
	v_cndmask_b32_e64 v40, -v37, v37, s35
	s_wait_dscnt 0x1
	v_add_f32_e32 v37, v24, v38
	v_add_f32_e32 v24, v102, v46
	s_wait_dscnt 0x0
	v_add_f32_e32 v38, v40, v39
	ds_bpermute_b32 v39, v136, v24
	v_cndmask_b32_e64 v24, -v24, v24, s34
	s_wait_dscnt 0x0
	s_delay_alu instid0(VALU_DEP_1) | instskip(SKIP_3) | instid1(VALU_DEP_1)
	v_add_f32_e32 v24, v24, v39
	ds_bpermute_b32 v39, v138, v24
	v_cndmask_b32_e64 v24, -v24, v24, s35
	s_wait_dscnt 0x0
	v_dual_add_f32 v39, v24, v39 :: v_dual_add_f32 v24, v103, v48
	ds_bpermute_b32 v48, v140, v121
	ds_bpermute_b32 v40, v136, v24
	v_cndmask_b32_e64 v24, -v24, v24, s34
	s_wait_dscnt 0x0
	s_delay_alu instid0(VALU_DEP_1) | instskip(SKIP_3) | instid1(VALU_DEP_1)
	v_add_f32_e32 v24, v24, v40
	ds_bpermute_b32 v40, v138, v24
	v_cndmask_b32_e64 v24, -v24, v24, s35
	s_wait_dscnt 0x0
	v_add_f32_e32 v40, v24, v40
	ds_bpermute_b32 v24, v140, v29
	v_cndmask_b32_e64 v29, -v29, v29, s36
	ds_store_b128 v142, v[33:36] offset:16384
	ds_store_b128 v142, v[37:40] offset:20480
	ds_bpermute_b32 v33, v140, v30
	ds_bpermute_b32 v37, v140, v26
	v_cndmask_b32_e64 v39, -v26, v26, s36
	v_cndmask_b32_e64 v30, -v30, v30, s36
	ds_bpermute_b32 v36, v140, v25
	v_cndmask_b32_e64 v38, -v25, v25, s36
	ds_bpermute_b32 v34, v140, v31
	ds_bpermute_b32 v40, v140, v27
	v_cndmask_b32_e64 v31, -v31, v31, s36
	ds_bpermute_b32 v35, v140, v32
	v_cndmask_b32_e64 v32, -v32, v32, s36
	s_wait_dscnt 0x5
	v_dual_add_f32 v24, v29, v24 :: v_dual_add_f32 v25, v30, v33
	ds_bpermute_b32 v26, v136, v24
	v_cndmask_b32_e64 v24, -v24, v24, s34
	s_wait_dscnt 0x5
	v_add_f32_e32 v29, v39, v37
	ds_bpermute_b32 v33, v140, v126
	v_cndmask_b32_e64 v37, -v126, v126, s36
	v_cndmask_b32_e64 v39, -v128, v128, s36
	s_wait_dscnt 0x1
	v_add_f32_e32 v24, v24, v26
	ds_bpermute_b32 v26, v136, v25
	v_cndmask_b32_e64 v25, -v25, v25, s34
	s_wait_dscnt 0x0
	s_delay_alu instid0(VALU_DEP_1)
	v_add_f32_e32 v25, v25, v26
	ds_bpermute_b32 v26, v138, v24
	v_cndmask_b32_e64 v24, -v24, v24, s35
	ds_bpermute_b32 v27, v138, v25
	v_cndmask_b32_e64 v25, -v25, v25, s35
	s_wait_dscnt 0x1
	v_add_f32_e32 v24, v24, v26
	v_add_f32_e32 v26, v31, v34
	ds_bpermute_b32 v34, v140, v127
	s_wait_dscnt 0x1
	v_add_f32_e32 v25, v25, v27
	ds_bpermute_b32 v27, v136, v26
	v_cndmask_b32_e64 v26, -v26, v26, s34
	s_wait_dscnt 0x0
	s_delay_alu instid0(VALU_DEP_1) | instskip(SKIP_3) | instid1(VALU_DEP_1)
	v_add_f32_e32 v26, v26, v27
	ds_bpermute_b32 v27, v138, v26
	v_cndmask_b32_e64 v26, -v26, v26, s35
	s_wait_dscnt 0x0
	v_add_f32_e32 v26, v26, v27
	v_add_f32_e32 v27, v32, v35
	v_cndmask_b32_e64 v35, -v125, v125, s36
	ds_bpermute_b32 v28, v136, v27
	v_cndmask_b32_e64 v27, -v27, v27, s34
	s_wait_dscnt 0x0
	s_delay_alu instid0(VALU_DEP_1) | instskip(SKIP_3) | instid1(VALU_DEP_1)
	v_add_f32_e32 v27, v27, v28
	ds_bpermute_b32 v28, v138, v27
	v_cndmask_b32_e64 v27, -v27, v27, s35
	s_wait_dscnt 0x0
	v_add_f32_e32 v27, v27, v28
	v_add_f32_e32 v28, v38, v36
	v_cndmask_b32_e64 v38, -v127, v127, s36
	ds_bpermute_b32 v36, v140, v128
	ds_bpermute_b32 v30, v136, v28
	v_cndmask_b32_e64 v28, -v28, v28, s34
	s_wait_dscnt 0x0
	s_delay_alu instid0(VALU_DEP_1) | instskip(SKIP_3) | instid1(VALU_DEP_1)
	v_add_f32_e32 v28, v28, v30
	ds_bpermute_b32 v30, v136, v29
	v_cndmask_b32_e64 v29, -v29, v29, s34
	s_wait_dscnt 0x0
	v_add_f32_e32 v29, v29, v30
	ds_bpermute_b32 v30, v138, v28
	v_cndmask_b32_e64 v28, -v28, v28, s35
	ds_bpermute_b32 v31, v138, v29
	v_cndmask_b32_e64 v29, -v29, v29, s35
	s_wait_dscnt 0x1
	v_add_f32_e32 v28, v28, v30
	s_wait_dscnt 0x0
	s_delay_alu instid0(VALU_DEP_2) | instskip(SKIP_3) | instid1(VALU_DEP_1)
	v_dual_add_f32 v30, v42, v40 :: v_dual_add_f32 v29, v29, v31
	ds_bpermute_b32 v31, v136, v30
	v_cndmask_b32_e64 v30, -v30, v30, s34
	s_wait_dscnt 0x0
	v_add_f32_e32 v30, v30, v31
	ds_bpermute_b32 v31, v138, v30
	v_cndmask_b32_e64 v30, -v30, v30, s35
	s_wait_dscnt 0x0
	s_delay_alu instid0(VALU_DEP_1) | instskip(SKIP_3) | instid1(VALU_DEP_1)
	v_dual_add_f32 v30, v30, v31 :: v_dual_add_f32 v31, v43, v41
	ds_bpermute_b32 v32, v136, v31
	v_cndmask_b32_e64 v31, -v31, v31, s34
	s_wait_dscnt 0x0
	v_add_f32_e32 v31, v31, v32
	ds_bpermute_b32 v32, v138, v31
	v_cndmask_b32_e64 v31, -v31, v31, s35
	s_wait_dscnt 0x0
	s_delay_alu instid0(VALU_DEP_1)
	v_add_f32_e32 v31, v31, v32
	ds_store_b128 v142, v[24:27] offset:24576
	ds_store_b128 v142, v[28:31] offset:28672
	ds_bpermute_b32 v24, v140, v129
	v_cndmask_b32_e64 v27, -v129, v129, s36
	ds_bpermute_b32 v25, v140, v130
	v_cndmask_b32_e64 v28, -v130, v130, s36
	;; [unrolled: 2-line block ×4, first 2 shown]
	ds_bpermute_b32 v32, v140, v125
	s_wait_loadcnt_dscnt 0x0
	s_barrier_signal -1
	s_barrier_wait -1
	global_inv scope:SCOPE_SE
	v_dual_add_f32 v129, v185, v189 :: v_dual_add_f32 v130, v186, v190
	v_add_f32_e32 v131, v187, v191
	v_dual_add_f32 v24, v27, v24 :: v_dual_add_f32 v25, v28, v25
	ds_bpermute_b32 v27, v136, v24
	v_cndmask_b32_e64 v24, -v24, v24, s34
	s_wait_dscnt 0x0
	s_delay_alu instid0(VALU_DEP_1) | instskip(SKIP_3) | instid1(VALU_DEP_1)
	v_add_f32_e32 v24, v24, v27
	ds_bpermute_b32 v27, v136, v25
	v_cndmask_b32_e64 v25, -v25, v25, s34
	s_wait_dscnt 0x0
	v_add_f32_e32 v25, v25, v27
	ds_bpermute_b32 v27, v138, v24
	v_cndmask_b32_e64 v24, -v24, v24, s35
	ds_bpermute_b32 v28, v138, v25
	v_cndmask_b32_e64 v25, -v25, v25, s35
	s_wait_dscnt 0x1
	v_dual_add_f32 v109, v24, v27 :: v_dual_add_f32 v24, v29, v26
	s_wait_dscnt 0x0
	s_delay_alu instid0(VALU_DEP_2) | instskip(SKIP_3) | instid1(VALU_DEP_1)
	v_add_f32_e32 v110, v25, v28
	ds_bpermute_b32 v25, v136, v24
	v_cndmask_b32_e64 v24, -v24, v24, s34
	s_wait_dscnt 0x0
	v_add_f32_e32 v24, v24, v25
	ds_bpermute_b32 v25, v138, v24
	v_cndmask_b32_e64 v24, -v24, v24, s35
	s_wait_dscnt 0x0
	s_delay_alu instid0(VALU_DEP_1) | instskip(SKIP_3) | instid1(VALU_DEP_1)
	v_dual_add_f32 v111, v24, v25 :: v_dual_add_f32 v24, v31, v30
	ds_bpermute_b32 v25, v136, v24
	v_cndmask_b32_e64 v24, -v24, v24, s34
	s_wait_dscnt 0x0
	v_add_f32_e32 v24, v24, v25
	ds_bpermute_b32 v25, v138, v24
	v_cndmask_b32_e64 v24, -v24, v24, s35
	s_wait_dscnt 0x0
	s_delay_alu instid0(VALU_DEP_1) | instskip(SKIP_4) | instid1(VALU_DEP_1)
	v_add_f32_e32 v112, v24, v25
	v_dual_add_f32 v24, v35, v32 :: v_dual_add_f32 v25, v37, v33
	ds_bpermute_b32 v26, v136, v24
	v_cndmask_b32_e64 v24, -v24, v24, s34
	s_wait_dscnt 0x0
	v_add_f32_e32 v24, v24, v26
	ds_bpermute_b32 v26, v136, v25
	v_cndmask_b32_e64 v25, -v25, v25, s34
	s_wait_dscnt 0x0
	s_delay_alu instid0(VALU_DEP_1)
	v_add_f32_e32 v25, v25, v26
	ds_bpermute_b32 v26, v138, v24
	v_cndmask_b32_e64 v24, -v24, v24, s35
	ds_bpermute_b32 v27, v138, v25
	v_cndmask_b32_e64 v25, -v25, v25, s35
	s_wait_dscnt 0x1
	v_add_f32_e32 v125, v24, v26
	v_add_f32_e32 v24, v38, v34
	s_wait_dscnt 0x0
	v_add_f32_e32 v126, v25, v27
	ds_bpermute_b32 v25, v136, v24
	v_cndmask_b32_e64 v24, -v24, v24, s34
	s_wait_dscnt 0x0
	s_delay_alu instid0(VALU_DEP_1) | instskip(SKIP_3) | instid1(VALU_DEP_1)
	v_add_f32_e32 v24, v24, v25
	ds_bpermute_b32 v25, v138, v24
	v_cndmask_b32_e64 v24, -v24, v24, s35
	s_wait_dscnt 0x0
	v_dual_add_f32 v127, v24, v25 :: v_dual_add_f32 v24, v39, v36
	ds_bpermute_b32 v25, v136, v24
	v_cndmask_b32_e64 v24, -v24, v24, s34
	s_wait_dscnt 0x0
	s_delay_alu instid0(VALU_DEP_1) | instskip(SKIP_3) | instid1(VALU_DEP_1)
	v_add_f32_e32 v24, v24, v25
	ds_bpermute_b32 v25, v138, v24
	v_cndmask_b32_e64 v24, -v24, v24, s35
	s_wait_dscnt 0x0
	v_add_f32_e32 v128, v24, v25
	ds_load_b128 v[101:104], v134
	ds_load_b128 v[105:108], v134 offset:4096
	ds_load_b128 v[40:43], v134 offset:8192
	ds_load_b128 v[44:47], v134 offset:12288
	ds_load_b128 v[32:35], v134 offset:16384
	ds_load_b128 v[36:39], v134 offset:20480
	ds_load_b128 v[24:27], v134 offset:24576
	ds_load_b128 v[28:31], v134 offset:28672
	s_wait_loadcnt_dscnt 0x0
	s_barrier_signal -1
	s_barrier_wait -1
	global_inv scope:SCOPE_SE
	ds_store_b128 v142, v[109:112]
	ds_store_b128 v142, v[125:128] offset:4096
	v_cndmask_b32_e64 v110, -v121, v121, s36
	ds_bpermute_b32 v109, v140, v122
	v_cndmask_b32_e64 v121, -v122, v122, s36
	ds_bpermute_b32 v111, v140, v123
	v_cndmask_b32_e64 v122, -v123, v123, s36
	v_add_f32_e32 v48, v110, v48
	ds_bpermute_b32 v112, v140, v124
	v_cndmask_b32_e64 v123, -v124, v124, s36
	ds_bpermute_b32 v124, v140, v117
	ds_bpermute_b32 v125, v140, v118
	;; [unrolled: 1-line block ×3, first 2 shown]
	v_cndmask_b32_e64 v48, -v48, v48, s34
	v_cndmask_b32_e64 v117, -v117, v117, s36
	;; [unrolled: 1-line block ×3, first 2 shown]
	ds_bpermute_b32 v126, v140, v119
	v_cndmask_b32_e64 v119, -v119, v119, s36
	ds_bpermute_b32 v127, v140, v120
	v_cndmask_b32_e64 v120, -v120, v120, s36
	v_add_f32_e32 v248, v101, v105
	v_add_f32_e32 v252, v40, v44
	;; [unrolled: 1-line block ×3, first 2 shown]
	s_wait_dscnt 0x7
	v_add_f32_e32 v109, v121, v109
	v_add_f32_e32 v175, v24, v28
	;; [unrolled: 1-line block ×9, first 2 shown]
	s_wait_dscnt 0x2
	v_add_f32_e32 v48, v48, v110
	ds_bpermute_b32 v110, v136, v109
	v_cndmask_b32_e64 v109, -v109, v109, s34
	v_add_f32_e32 v254, v42, v46
	v_add_f32_e32 v173, v34, v38
	;; [unrolled: 1-line block ×12, first 2 shown]
	v_dual_add_f32 v158, v201, v205 :: v_dual_add_f32 v203, v251, v255
	s_delay_alu instid0(VALU_DEP_4) | instskip(NEXT) | instid1(VALU_DEP_3)
	v_add_f32_e32 v207, v174, v178
	v_add_f32_e32 v160, v202, v206
	s_wait_dscnt 0x0
	v_add_f32_e32 v109, v109, v110
	ds_bpermute_b32 v110, v138, v48
	v_cndmask_b32_e64 v48, -v48, v48, s35
	v_add_f32_e32 v162, v203, v207
	ds_bpermute_b32 v121, v138, v109
	v_cndmask_b32_e64 v128, -v109, v109, s35
	s_wait_dscnt 0x1
	v_dual_add_f32 v109, v48, v110 :: v_dual_add_f32 v48, v122, v111
	s_wait_dscnt 0x0
	s_delay_alu instid0(VALU_DEP_2) | instskip(SKIP_3) | instid1(VALU_DEP_1)
	v_add_f32_e32 v110, v128, v121
	ds_bpermute_b32 v111, v136, v48
	v_cndmask_b32_e64 v48, -v48, v48, s34
	s_wait_dscnt 0x0
	v_add_f32_e32 v48, v48, v111
	ds_bpermute_b32 v111, v138, v48
	v_cndmask_b32_e64 v48, -v48, v48, s35
	s_wait_dscnt 0x0
	s_delay_alu instid0(VALU_DEP_1) | instskip(SKIP_4) | instid1(VALU_DEP_1)
	v_dual_add_f32 v111, v48, v111 :: v_dual_add_f32 v48, v123, v112
	v_cndmask_b32_e64 v123, -v15, v15, s36
	ds_bpermute_b32 v112, v136, v48
	v_cndmask_b32_e64 v48, -v48, v48, s34
	s_wait_dscnt 0x0
	v_add_f32_e32 v48, v48, v112
	ds_bpermute_b32 v112, v138, v48
	v_cndmask_b32_e64 v48, -v48, v48, s35
	s_wait_dscnt 0x0
	s_delay_alu instid0(VALU_DEP_1) | instskip(SKIP_4) | instid1(VALU_DEP_1)
	v_add_f32_e32 v112, v48, v112
	v_dual_add_f32 v48, v117, v124 :: v_dual_add_f32 v117, v118, v125
	ds_bpermute_b32 v118, v136, v48
	v_cndmask_b32_e64 v48, -v48, v48, s34
	s_wait_dscnt 0x0
	v_add_f32_e32 v48, v48, v118
	ds_bpermute_b32 v118, v136, v117
	v_cndmask_b32_e64 v117, -v117, v117, s34
	s_wait_dscnt 0x0
	s_delay_alu instid0(VALU_DEP_1)
	v_add_f32_e32 v117, v117, v118
	ds_bpermute_b32 v118, v138, v48
	v_cndmask_b32_e64 v48, -v48, v48, s35
	ds_bpermute_b32 v121, v138, v117
	v_cndmask_b32_e64 v122, -v117, v117, s35
	s_wait_dscnt 0x1
	v_add_f32_e32 v117, v48, v118
	v_add_f32_e32 v48, v119, v126
	s_wait_dscnt 0x0
	v_add_f32_e32 v118, v122, v121
	v_cndmask_b32_e64 v121, -v14, v14, s36
	ds_bpermute_b32 v119, v136, v48
	v_cndmask_b32_e64 v48, -v48, v48, s34
	ds_bpermute_b32 v122, v140, v15
	s_wait_dscnt 0x1
	v_add_f32_e32 v48, v48, v119
	ds_bpermute_b32 v119, v138, v48
	v_cndmask_b32_e64 v48, -v48, v48, s35
	s_wait_dscnt 0x0
	s_delay_alu instid0(VALU_DEP_1) | instskip(SKIP_4) | instid1(VALU_DEP_1)
	v_add_f32_e32 v119, v48, v119
	v_add_f32_e32 v48, v120, v127
	ds_bpermute_b32 v120, v136, v48
	v_cndmask_b32_e64 v48, -v48, v48, s34
	s_wait_dscnt 0x0
	v_add_f32_e32 v48, v48, v120
	ds_bpermute_b32 v120, v138, v48
	v_cndmask_b32_e64 v48, -v48, v48, s35
	s_wait_dscnt 0x0
	s_delay_alu instid0(VALU_DEP_1)
	v_add_f32_e32 v120, v48, v120
	ds_bpermute_b32 v48, v140, v113
	ds_store_b128 v142, v[109:112] offset:8192
	ds_store_b128 v142, v[117:120] offset:12288
	v_cndmask_b32_e64 v110, -v113, v113, s36
	ds_bpermute_b32 v109, v140, v114
	v_cndmask_b32_e64 v111, -v114, v114, s36
	ds_bpermute_b32 v112, v140, v115
	ds_bpermute_b32 v113, v140, v116
	v_cndmask_b32_e64 v114, -v115, v115, s36
	v_cndmask_b32_e64 v115, -v116, v116, s36
	ds_bpermute_b32 v116, v140, v12
	v_cndmask_b32_e64 v119, -v12, v12, s36
	ds_bpermute_b32 v118, v140, v14
	ds_bpermute_b32 v117, v140, v13
	v_cndmask_b32_e64 v120, -v13, v13, s36
	s_wait_dscnt 0x8
	v_add_f32_e32 v12, v110, v48
	ds_bpermute_b32 v14, v136, v12
	s_wait_dscnt 0x6
	v_add_f32_e32 v13, v111, v109
	v_cndmask_b32_e64 v12, -v12, v12, s34
	s_wait_dscnt 0x1
	v_add_f32_e32 v109, v120, v117
	s_wait_dscnt 0x0
	s_delay_alu instid0(VALU_DEP_2) | instskip(SKIP_3) | instid1(VALU_DEP_1)
	v_add_f32_e32 v12, v12, v14
	ds_bpermute_b32 v14, v136, v13
	v_cndmask_b32_e64 v13, -v13, v13, s34
	s_wait_dscnt 0x0
	v_add_f32_e32 v13, v13, v14
	ds_bpermute_b32 v14, v138, v12
	v_cndmask_b32_e64 v12, -v12, v12, s35
	ds_bpermute_b32 v15, v138, v13
	v_cndmask_b32_e64 v13, -v13, v13, s35
	s_wait_dscnt 0x1
	v_add_f32_e32 v12, v12, v14
	v_add_f32_e32 v14, v114, v112
	v_cndmask_b32_e64 v114, -v2, v2, s36
	s_wait_dscnt 0x0
	v_add_f32_e32 v13, v13, v15
	ds_bpermute_b32 v15, v136, v14
	v_cndmask_b32_e64 v14, -v14, v14, s34
	s_wait_dscnt 0x0
	s_delay_alu instid0(VALU_DEP_1) | instskip(SKIP_3) | instid1(VALU_DEP_1)
	v_add_f32_e32 v14, v14, v15
	ds_bpermute_b32 v15, v138, v14
	v_cndmask_b32_e64 v14, -v14, v14, s35
	s_wait_dscnt 0x0
	v_dual_add_f32 v14, v14, v15 :: v_dual_add_f32 v15, v115, v113
	v_cndmask_b32_e64 v113, -v1, v1, s36
	v_cndmask_b32_e64 v115, -v3, v3, s36
	ds_bpermute_b32 v48, v136, v15
	v_cndmask_b32_e64 v15, -v15, v15, s34
	s_wait_dscnt 0x0
	s_delay_alu instid0(VALU_DEP_1) | instskip(SKIP_3) | instid1(VALU_DEP_1)
	v_add_f32_e32 v15, v15, v48
	ds_bpermute_b32 v48, v138, v15
	v_cndmask_b32_e64 v15, -v15, v15, s35
	s_wait_dscnt 0x0
	v_add_f32_e32 v15, v15, v48
	v_add_f32_e32 v48, v119, v116
	ds_bpermute_b32 v110, v136, v48
	v_cndmask_b32_e64 v48, -v48, v48, s34
	s_wait_dscnt 0x0
	s_delay_alu instid0(VALU_DEP_1) | instskip(SKIP_3) | instid1(VALU_DEP_1)
	v_add_f32_e32 v48, v48, v110
	ds_bpermute_b32 v110, v136, v109
	v_cndmask_b32_e64 v109, -v109, v109, s34
	s_wait_dscnt 0x0
	v_add_f32_e32 v109, v109, v110
	ds_bpermute_b32 v110, v138, v48
	v_cndmask_b32_e64 v48, -v48, v48, s35
	ds_bpermute_b32 v111, v138, v109
	v_cndmask_b32_e64 v112, -v109, v109, s35
	s_wait_dscnt 0x1
	v_add_f32_e32 v109, v48, v110
	v_add_f32_e32 v48, v121, v118
	s_wait_dscnt 0x0
	v_add_f32_e32 v110, v112, v111
	ds_bpermute_b32 v111, v136, v48
	v_cndmask_b32_e64 v48, -v48, v48, s34
	s_wait_dscnt 0x0
	s_delay_alu instid0(VALU_DEP_1) | instskip(SKIP_3) | instid1(VALU_DEP_1)
	v_add_f32_e32 v48, v48, v111
	ds_bpermute_b32 v111, v138, v48
	v_cndmask_b32_e64 v48, -v48, v48, s35
	s_wait_dscnt 0x0
	v_dual_add_f32 v111, v48, v111 :: v_dual_add_f32 v48, v123, v122
	ds_bpermute_b32 v112, v136, v48
	v_cndmask_b32_e64 v48, -v48, v48, s34
	s_wait_dscnt 0x0
	s_delay_alu instid0(VALU_DEP_1) | instskip(SKIP_3) | instid1(VALU_DEP_1)
	v_add_f32_e32 v48, v48, v112
	ds_bpermute_b32 v112, v138, v48
	v_cndmask_b32_e64 v48, -v48, v48, s35
	s_wait_dscnt 0x0
	v_add_f32_e32 v112, v48, v112
	ds_store_b128 v142, v[12:15] offset:16384
	ds_store_b128 v142, v[109:112] offset:20480
	ds_bpermute_b32 v12, v140, v4
	v_cndmask_b32_e64 v4, -v4, v4, s36
	ds_bpermute_b32 v13, v140, v5
	ds_bpermute_b32 v48, v140, v0
	v_cndmask_b32_e64 v112, -v0, v0, s36
	ds_bpermute_b32 v110, v140, v2
	v_cndmask_b32_e64 v5, -v5, v5, s36
	ds_bpermute_b32 v109, v140, v1
	ds_bpermute_b32 v14, v140, v6
	;; [unrolled: 1-line block ×3, first 2 shown]
	v_cndmask_b32_e64 v6, -v6, v6, s36
	ds_bpermute_b32 v15, v140, v7
	v_cndmask_b32_e64 v7, -v7, v7, s36
	s_wait_dscnt 0x6
	v_dual_add_f32 v0, v4, v12 :: v_dual_add_f32 v1, v5, v13
	ds_bpermute_b32 v2, v136, v0
	v_cndmask_b32_e64 v0, -v0, v0, s34
	s_wait_dscnt 0x0
	s_delay_alu instid0(VALU_DEP_1) | instskip(SKIP_3) | instid1(VALU_DEP_1)
	v_dual_add_f32 v5, v113, v109 :: v_dual_add_f32 v0, v0, v2
	ds_bpermute_b32 v2, v136, v1
	v_cndmask_b32_e64 v1, -v1, v1, s34
	s_wait_dscnt 0x0
	v_add_f32_e32 v1, v1, v2
	ds_bpermute_b32 v2, v138, v0
	v_cndmask_b32_e64 v0, -v0, v0, s35
	ds_bpermute_b32 v3, v138, v1
	v_cndmask_b32_e64 v1, -v1, v1, s35
	s_wait_dscnt 0x1
	v_add_f32_e32 v0, v0, v2
	s_wait_dscnt 0x0
	s_delay_alu instid0(VALU_DEP_2) | instskip(SKIP_3) | instid1(VALU_DEP_1)
	v_dual_add_f32 v2, v6, v14 :: v_dual_add_f32 v1, v1, v3
	ds_bpermute_b32 v3, v136, v2
	v_cndmask_b32_e64 v2, -v2, v2, s34
	s_wait_dscnt 0x0
	v_add_f32_e32 v2, v2, v3
	ds_bpermute_b32 v3, v138, v2
	v_cndmask_b32_e64 v2, -v2, v2, s35
	s_wait_dscnt 0x0
	s_delay_alu instid0(VALU_DEP_1) | instskip(SKIP_4) | instid1(VALU_DEP_1)
	v_add_f32_e32 v2, v2, v3
	v_add_f32_e32 v3, v7, v15
	ds_bpermute_b32 v4, v136, v3
	v_cndmask_b32_e64 v3, -v3, v3, s34
	s_wait_dscnt 0x0
	v_add_f32_e32 v3, v3, v4
	ds_bpermute_b32 v4, v138, v3
	v_cndmask_b32_e64 v3, -v3, v3, s35
	s_wait_dscnt 0x0
	s_delay_alu instid0(VALU_DEP_1)
	v_add_f32_e32 v3, v3, v4
	v_add_f32_e32 v4, v112, v48
	;; [unrolled: 1-line block ×3, first 2 shown]
	ds_bpermute_b32 v6, v136, v4
	v_cndmask_b32_e64 v4, -v4, v4, s34
	s_wait_dscnt 0x0
	s_delay_alu instid0(VALU_DEP_1) | instskip(SKIP_3) | instid1(VALU_DEP_1)
	v_add_f32_e32 v4, v4, v6
	ds_bpermute_b32 v6, v136, v5
	v_cndmask_b32_e64 v5, -v5, v5, s34
	s_wait_dscnt 0x0
	v_add_f32_e32 v5, v5, v6
	ds_bpermute_b32 v6, v138, v4
	v_cndmask_b32_e64 v4, -v4, v4, s35
	ds_bpermute_b32 v7, v138, v5
	v_cndmask_b32_e64 v5, -v5, v5, s35
	s_wait_dscnt 0x1
	v_add_f32_e32 v4, v4, v6
	s_wait_dscnt 0x0
	s_delay_alu instid0(VALU_DEP_2) | instskip(SKIP_3) | instid1(VALU_DEP_1)
	v_dual_add_f32 v6, v114, v110 :: v_dual_add_f32 v5, v5, v7
	ds_bpermute_b32 v7, v136, v6
	v_cndmask_b32_e64 v6, -v6, v6, s34
	s_wait_dscnt 0x0
	v_add_f32_e32 v6, v6, v7
	ds_bpermute_b32 v7, v138, v6
	v_cndmask_b32_e64 v6, -v6, v6, s35
	s_wait_dscnt 0x0
	s_delay_alu instid0(VALU_DEP_1)
	v_add_f32_e32 v6, v6, v7
	v_add_f32_e32 v7, v115, v111
	ds_bpermute_b32 v12, v136, v7
	v_cndmask_b32_e64 v7, -v7, v7, s34
	s_load_b32 s34, s[0:1], 0x20
	s_mul_u64 s[0:1], s[46:47], s[48:49]
	s_delay_alu instid0(SALU_CYCLE_1) | instskip(NEXT) | instid1(SALU_CYCLE_1)
	s_lshl_b64 s[0:1], s[0:1], 2
	s_add_nc_u64 s[0:1], s[42:43], s[0:1]
	s_wait_dscnt 0x0
	v_add_f32_e32 v7, v7, v12
	ds_bpermute_b32 v12, v138, v7
	v_cndmask_b32_e64 v7, -v7, v7, s35
	s_wait_dscnt 0x0
	s_delay_alu instid0(VALU_DEP_1)
	v_add_f32_e32 v7, v7, v12
	ds_store_b128 v142, v[0:3] offset:24576
	ds_store_b128 v142, v[4:7] offset:28672
	s_wait_loadcnt_dscnt 0x0
	s_barrier_signal -1
	s_barrier_wait -1
	global_inv scope:SCOPE_SE
	ds_load_b128 v[0:3], v134
	ds_load_b128 v[4:7], v134 offset:4096
	ds_load_b128 v[12:15], v134 offset:8192
	;; [unrolled: 1-line block ×7, first 2 shown]
	scratch_store_b32 off, v48, off offset:8 ; 4-byte Folded Spill
	v_add_f32_e32 v48, v48, v148
	s_clause 0x1
	scratch_store_b32 off, v48, off offset:216
	scratch_store_b32 off, v129, off offset:12
	v_add_f32_e32 v48, v129, v150
	s_clause 0x1
	scratch_store_b32 off, v48, off offset:220
	scratch_store_b32 off, v130, off offset:16
	;; [unrolled: 4-line block ×3, first 2 shown]
	s_wait_dscnt 0x6
	v_add_f32_e32 v179, v0, v4
	s_wait_dscnt 0x4
	v_add_f32_e32 v183, v12, v109
	;; [unrolled: 2-line block ×4, first 2 shown]
	v_add_f32_e32 v180, v1, v5
	v_add_f32_e32 v167, v13, v110
	;; [unrolled: 1-line block ×3, first 2 shown]
	v_dual_add_f32 v147, v122, v126 :: v_dual_add_f32 v208, v179, v183
	v_dual_add_f32 v212, v137, v145 :: v_dual_add_f32 v181, v2, v6
	v_add_f32_e32 v133, v14, v111
	v_add_f32_e32 v141, v115, v119
	;; [unrolled: 1-line block ×4, first 2 shown]
	v_dual_add_f32 v213, v139, v147 :: v_dual_add_f32 v164, v208, v212
	v_add_f32_e32 v48, v131, v154
	v_add_f32_e32 v182, v3, v7
	;; [unrolled: 1-line block ×4, first 2 shown]
	v_dual_add_f32 v151, v124, v128 :: v_dual_add_f32 v210, v181, v133
	v_add_f32_e32 v214, v141, v149
	v_add_f32_e32 v166, v209, v213
	scratch_store_b32 off, v48, off offset:228 ; 4-byte Folded Spill
	v_dual_add_f32 v48, v156, v164 :: v_dual_add_f32 v211, v182, v135
	v_dual_add_f32 v215, v143, v151 :: v_dual_add_f32 v168, v210, v214
	scratch_store_b32 off, v48, off offset:232 ; 4-byte Folded Spill
	v_add_f32_e32 v48, v158, v166
	v_add_f32_e32 v170, v211, v215
	scratch_store_b32 off, v48, off offset:236 ; 4-byte Folded Spill
	v_add_f32_e32 v48, v160, v168
	scratch_store_b32 off, v48, off offset:240 ; 4-byte Folded Spill
	;; [unrolled: 2-line block ×3, first 2 shown]
	s_and_saveexec_b32 s35, s33
	s_cbranch_execz .LBB12_66
; %bb.65:
	v_dual_add_f32 v48, v187, v191 :: v_dual_add_f32 v129, v162, v170
	v_dual_add_f32 v130, v160, v168 :: v_dual_add_f32 v131, v158, v166
	s_delay_alu instid0(VALU_DEP_2) | instskip(NEXT) | instid1(VALU_DEP_1)
	v_add_f32_e32 v48, v48, v154
	v_dual_add_f32 v48, v48, v129 :: v_dual_add_f32 v129, v186, v190
	s_delay_alu instid0(VALU_DEP_1) | instskip(NEXT) | instid1(VALU_DEP_1)
	v_add_f32_e32 v129, v129, v152
	v_add_f32_e32 v129, v129, v130
	;; [unrolled: 1-line block ×3, first 2 shown]
	s_delay_alu instid0(VALU_DEP_1) | instskip(NEXT) | instid1(VALU_DEP_1)
	v_add_f32_e32 v130, v130, v150
	v_dual_add_f32 v130, v130, v131 :: v_dual_add_f32 v131, v184, v188
	v_add_f32_e32 v132, v156, v164
	s_wait_kmcnt 0x0
	s_delay_alu instid0(VALU_DEP_2) | instskip(NEXT) | instid1(VALU_DEP_1)
	v_dual_mul_f32 v130, s34, v130 :: v_dual_add_f32 v131, v131, v148
	v_add_f32_e32 v134, v131, v132
	v_dual_mul_f32 v132, s34, v48 :: v_dual_mul_f32 v131, s34, v129
	s_delay_alu instid0(VALU_DEP_2)
	v_mul_f32_e32 v129, s34, v134
	global_store_b128 v144, v[129:132], s[0:1]
.LBB12_66:
	s_wait_alu 0xfffe
	s_or_b32 exec_lo, exec_lo, s35
	v_dual_sub_f32 v153, v93, v97 :: v_dual_sub_f32 v130, v22, v83
	v_dual_sub_f32 v155, v94, v98 :: v_dual_sub_f32 v48, v20, v81
	;; [unrolled: 1-line block ×8, first 2 shown]
	v_sub_f32_e32 v57, v57, v61
	v_dual_sub_f32 v53, v49, v53 :: v_dual_sub_f32 v40, v40, v44
	v_dual_sub_f32 v163, v86, v90 :: v_dual_sub_f32 v142, v11, v19
	;; [unrolled: 1-line block ×5, first 2 shown]
	v_dual_sub_f32 v62, v102, v106 :: v_dual_add_f32 v69, v153, v161
	v_add_f32_e32 v70, v155, v163
	v_dual_add_f32 v72, v159, v169 :: v_dual_add_f32 v77, v48, v132
	v_dual_add_f32 v81, v73, v65 :: v_dual_add_f32 v82, v74, v66
	;; [unrolled: 1-line block ×3, first 2 shown]
	v_dual_sub_f32 v75, v75, v79 :: v_dual_sub_f32 v60, v60, v64
	v_dual_sub_f32 v67, v67, v71 :: v_dual_sub_f32 v56, v52, v56
	;; [unrolled: 1-line block ×4, first 2 shown]
	v_dual_add_f32 v78, v129, v138 :: v_dual_add_f32 v79, v130, v140
	v_add_f32_e32 v16, v69, v77
	v_dual_add_f32 v20, v81, v85 :: v_dual_add_f32 v21, v82, v86
	v_dual_sub_f32 v61, v101, v105 :: v_dual_sub_f32 v8, v32, v36
	v_dual_add_f32 v71, v157, v165 :: v_dual_add_f32 v80, v131, v142
	v_dual_add_f32 v83, v75, v67 :: v_dual_add_f32 v84, v76, v68
	;; [unrolled: 1-line block ×4, first 2 shown]
	v_dual_sub_f32 v41, v41, v45 :: v_dual_sub_f32 v134, v24, v28
	v_dual_sub_f32 v11, v35, v39 :: v_dual_sub_f32 v0, v0, v4
	v_sub_f32_e32 v4, v12, v109
	v_sub_f32_e32 v12, v113, v117
	v_dual_sub_f32 v121, v121, v125 :: v_dual_sub_f32 v122, v122, v126
	v_dual_add_f32 v18, v71, v79 :: v_dual_add_f32 v19, v72, v80
	v_dual_add_f32 v22, v83, v87 :: v_dual_add_f32 v23, v84, v88
	scratch_store_b32 off, v32, off offset:248 ; 4-byte Folded Spill
	v_dual_add_f32 v32, v17, v21 :: v_dual_sub_f32 v43, v43, v47
	v_sub_f32_e32 v136, v25, v29
	v_dual_sub_f32 v9, v33, v37 :: v_dual_sub_f32 v144, v26, v30
	v_dual_sub_f32 v146, v27, v31 :: v_dual_sub_f32 v1, v1, v5
	v_sub_f32_e32 v5, v13, v110
	v_sub_f32_e32 v13, v114, v118
	v_dual_add_f32 v89, v61, v40 :: v_dual_add_f32 v90, v62, v41
	v_dual_add_f32 v93, v8, v134 :: v_dual_add_f32 v94, v9, v136
	s_delay_alu instid0(VALU_DEP_4) | instskip(NEXT) | instid1(VALU_DEP_4)
	v_dual_add_f32 v97, v0, v4 :: v_dual_add_f32 v98, v1, v5
	v_dual_add_f32 v101, v12, v121 :: v_dual_add_f32 v102, v13, v122
	scratch_store_b32 off, v32, off offset:252 ; 4-byte Folded Spill
	v_dual_add_f32 v32, v18, v22 :: v_dual_sub_f32 v63, v103, v107
	v_sub_f32_e32 v10, v34, v38
	v_dual_sub_f32 v2, v2, v6 :: v_dual_sub_f32 v3, v3, v7
	v_dual_sub_f32 v6, v14, v111 :: v_dual_sub_f32 v7, v15, v112
	;; [unrolled: 1-line block ×4, first 2 shown]
	v_dual_add_f32 v24, v89, v93 :: v_dual_add_f32 v25, v90, v94
	v_dual_add_f32 v28, v97, v101 :: v_dual_add_f32 v29, v98, v102
	scratch_store_b32 off, v32, off offset:256 ; 4-byte Folded Spill
	v_add_f32_e32 v32, v19, v23
	v_dual_add_f32 v91, v63, v42 :: v_dual_add_f32 v92, v64, v43
	v_dual_add_f32 v95, v10, v144 :: v_dual_add_f32 v96, v11, v146
	;; [unrolled: 1-line block ×4, first 2 shown]
	scratch_store_b32 off, v32, off offset:260 ; 4-byte Folded Spill
	v_add_f32_e32 v32, v24, v28
	v_dual_add_f32 v26, v91, v95 :: v_dual_add_f32 v27, v92, v96
	v_dual_add_f32 v30, v99, v103 :: v_dual_add_f32 v31, v100, v104
	scratch_store_b32 off, v32, off offset:264 ; 4-byte Folded Spill
	v_add_f32_e32 v32, v25, v29
	scratch_store_b32 off, v32, off offset:268 ; 4-byte Folded Spill
	v_add_f32_e32 v32, v26, v30
	;; [unrolled: 2-line block ×3, first 2 shown]
	scratch_store_b32 off, v32, off offset:276 ; 4-byte Folded Spill
	s_and_saveexec_b32 s33, s31
	s_cbranch_execz .LBB12_68
; %bb.67:
	v_add_f32_e32 v32, v16, v20
	v_dual_add_f32 v33, v24, v28 :: v_dual_add_f32 v34, v25, v29
	v_dual_add_f32 v35, v26, v30 :: v_dual_add_f32 v36, v27, v31
	s_delay_alu instid0(VALU_DEP_2) | instskip(SKIP_1) | instid1(VALU_DEP_1)
	v_add_f32_e32 v32, v32, v33
	v_add_f32_e32 v33, v17, v21
	;; [unrolled: 1-line block ×4, first 2 shown]
	s_wait_kmcnt 0x0
	s_delay_alu instid0(VALU_DEP_2) | instskip(NEXT) | instid1(VALU_DEP_2)
	v_dual_mul_f32 v32, s34, v32 :: v_dual_mul_f32 v33, s34, v33
	v_add_f32_e32 v34, v34, v35
	v_add_f32_e32 v35, v19, v23
	s_delay_alu instid0(VALU_DEP_1)
	v_add_f32_e32 v35, v35, v36
	scratch_load_b32 v36, off, off offset:212 th:TH_LOAD_LU ; 4-byte Folded Reload
	v_dual_mul_f32 v34, s34, v34 :: v_dual_mul_f32 v35, s34, v35
	s_wait_loadcnt 0x0
	global_store_b128 v36, v[32:35], s[0:1]
.LBB12_68:
	s_or_b32 exec_lo, exec_lo, s33
	v_dual_sub_f32 v105, v216, v220 :: v_dual_sub_f32 v106, v217, v221
	v_dual_sub_f32 v109, v224, v228 :: v_dual_sub_f32 v110, v225, v229
	;; [unrolled: 1-line block ×6, first 2 shown]
	v_sub_f32_e32 v217, v248, v252
	v_dual_sub_f32 v171, v171, v175 :: v_dual_sub_f32 v172, v172, v176
	v_dual_sub_f32 v107, v218, v222 :: v_dual_sub_f32 v108, v219, v223
	v_dual_sub_f32 v218, v249, v253 :: v_dual_sub_f32 v167, v180, v167
	v_dual_add_f32 v36, v113, v117 :: v_dual_add_f32 v33, v106, v110
	s_delay_alu instid0(VALU_DEP_4)
	v_dual_add_f32 v44, v217, v171 :: v_dual_add_f32 v39, v116, v120
	v_add_f32_e32 v37, v114, v118
	v_sub_f32_e32 v139, v139, v147
	v_dual_sub_f32 v111, v226, v230 :: v_dual_sub_f32 v112, v227, v231
	v_dual_sub_f32 v219, v250, v254 :: v_dual_sub_f32 v220, v251, v255
	;; [unrolled: 1-line block ×3, first 2 shown]
	v_dual_sub_f32 v175, v179, v183 :: v_dual_add_f32 v32, v105, v109
	s_delay_alu instid0(VALU_DEP_4) | instskip(NEXT) | instid1(VALU_DEP_3)
	v_dual_sub_f32 v133, v181, v133 :: v_dual_add_f32 v34, v107, v111
	v_dual_sub_f32 v135, v182, v135 :: v_dual_add_f32 v46, v219, v173
	;; [unrolled: 1-line block ×3, first 2 shown]
	v_dual_add_f32 v45, v218, v172 :: v_dual_add_f32 v242, v33, v37
	v_dual_sub_f32 v141, v141, v149 :: v_dual_add_f32 v50, v167, v139
	v_sub_f32_e32 v143, v143, v151
	v_add_f32_e32 v47, v220, v174
	v_add_f32_e32 v49, v175, v137
	s_delay_alu instid0(VALU_DEP_4) | instskip(NEXT) | instid1(VALU_DEP_4)
	v_dual_add_f32 v241, v32, v36 :: v_dual_add_f32 v246, v45, v50
	v_dual_add_f32 v35, v108, v112 :: v_dual_add_f32 v52, v135, v143
	v_add_f32_e32 v51, v133, v141
	v_add_f32_e32 v243, v34, v38
	s_delay_alu instid0(VALU_DEP_3) | instskip(NEXT) | instid1(VALU_DEP_3)
	v_dual_add_f32 v245, v44, v49 :: v_dual_add_f32 v244, v35, v39
	v_dual_add_f32 v248, v47, v52 :: v_dual_add_f32 v247, v46, v51
	s_and_saveexec_b32 s31, s30
	s_cbranch_execz .LBB12_70
; %bb.69:
	scratch_load_b32 v145, off, off offset:208 th:TH_LOAD_LU ; 4-byte Folded Reload
	v_dual_add_f32 v125, v241, v245 :: v_dual_add_f32 v126, v242, v246
	v_dual_add_f32 v127, v243, v247 :: v_dual_add_f32 v128, v244, v248
	s_wait_kmcnt 0x0
	s_delay_alu instid0(VALU_DEP_2) | instskip(NEXT) | instid1(VALU_DEP_2)
	v_dual_mul_f32 v125, s34, v125 :: v_dual_mul_f32 v126, s34, v126
	v_dual_mul_f32 v127, s34, v127 :: v_dual_mul_f32 v128, s34, v128
	s_wait_loadcnt 0x0
	global_store_b128 v145, v[125:128], s[0:1]
.LBB12_70:
	s_or_b32 exec_lo, exec_lo, s31
	v_dual_sub_f32 v145, v153, v161 :: v_dual_sub_f32 v48, v48, v132
	v_dual_sub_f32 v147, v155, v163 :: v_dual_sub_f32 v130, v130, v140
	v_sub_f32_e32 v149, v157, v165
	v_sub_f32_e32 v151, v159, v169
	v_dual_sub_f32 v129, v129, v138 :: v_dual_sub_f32 v140, v75, v67
	v_dual_sub_f32 v131, v131, v142 :: v_dual_sub_f32 v132, v73, v65
	;; [unrolled: 1-line block ×3, first 2 shown]
	v_sub_f32_e32 v228, v11, v146
	v_dual_sub_f32 v155, v58, v54 :: v_dual_sub_f32 v226, v9, v136
	v_dual_sub_f32 v157, v59, v55 :: v_dual_sub_f32 v238, v1, v5
	;; [unrolled: 1-line block ×3, first 2 shown]
	v_dual_sub_f32 v163, v62, v41 :: v_dual_add_f32 v60, v151, v131
	v_dual_sub_f32 v169, v64, v43 :: v_dual_add_f32 v58, v147, v129
	v_sub_f32_e32 v11, v15, v124
	v_sub_f32_e32 v9, v13, v122
	v_dual_sub_f32 v138, v74, v66 :: v_dual_sub_f32 v161, v61, v40
	v_sub_f32_e32 v165, v63, v42
	v_sub_f32_e32 v177, v8, v134
	v_dual_sub_f32 v227, v10, v144 :: v_dual_add_f32 v122, v163, v226
	v_dual_sub_f32 v237, v0, v4 :: v_dual_add_f32 v64, v142, v159
	;; [unrolled: 1-line block ×3, first 2 shown]
	v_sub_f32_e32 v8, v12, v121
	v_dual_sub_f32 v10, v14, v123 :: v_dual_add_f32 v63, v140, v157
	v_dual_add_f32 v128, v240, v11 :: v_dual_add_f32 v59, v149, v130
	v_add_f32_e32 v126, v238, v9
	v_dual_add_f32 v61, v132, v153 :: v_dual_add_f32 v62, v138, v155
	v_add_f32_e32 v121, v161, v177
	v_add_f32_e32 v123, v165, v227
	s_delay_alu instid0(VALU_DEP_4) | instskip(SKIP_4) | instid1(VALU_DEP_3)
	v_dual_add_f32 v125, v237, v8 :: v_dual_add_f32 v54, v122, v126
	v_add_f32_e32 v56, v124, v128
	v_dual_add_f32 v57, v145, v48 :: v_dual_add_f32 v42, v59, v63
	v_add_f32_e32 v127, v239, v10
	v_add_f32_e32 v41, v58, v62
	v_dual_add_f32 v43, v60, v64 :: v_dual_add_f32 v40, v57, v61
	v_add_f32_e32 v53, v121, v125
	s_delay_alu instid0(VALU_DEP_4)
	v_add_f32_e32 v55, v123, v127
	s_and_saveexec_b32 s30, s29
	s_cbranch_execz .LBB12_72
; %bb.71:
	scratch_load_b32 v4, off, off offset:204 th:TH_LOAD_LU ; 4-byte Folded Reload
	v_dual_add_f32 v0, v40, v53 :: v_dual_add_f32 v1, v41, v54
	v_dual_add_f32 v2, v42, v55 :: v_dual_add_f32 v3, v43, v56
	s_wait_kmcnt 0x0
	s_delay_alu instid0(VALU_DEP_2) | instskip(NEXT) | instid1(VALU_DEP_2)
	v_dual_mul_f32 v0, s34, v0 :: v_dual_mul_f32 v1, s34, v1
	v_dual_mul_f32 v2, s34, v2 :: v_dual_mul_f32 v3, s34, v3
	s_wait_loadcnt 0x0
	global_store_b128 v4, v[0:3], s[0:1]
.LBB12_72:
	s_or_b32 exec_lo, exec_lo, s30
	v_dual_sub_f32 v180, v184, v188 :: v_dual_sub_f32 v181, v185, v189
	v_dual_sub_f32 v182, v186, v190 :: v_dual_sub_f32 v183, v187, v191
	;; [unrolled: 1-line block ×8, first 2 shown]
	v_dual_add_f32 v65, v180, v184 :: v_dual_add_f32 v66, v181, v185
	v_dual_add_f32 v67, v182, v186 :: v_dual_add_f32 v68, v183, v187
	s_delay_alu instid0(VALU_DEP_4) | instskip(NEXT) | instid1(VALU_DEP_4)
	v_dual_add_f32 v73, v188, v192 :: v_dual_add_f32 v74, v189, v193
	v_dual_add_f32 v75, v190, v194 :: v_dual_add_f32 v76, v191, v195
	s_and_saveexec_b32 s29, s28
	s_cbranch_execz .LBB12_74
; %bb.73:
	scratch_load_b32 v4, off, off offset:200 th:TH_LOAD_LU ; 4-byte Folded Reload
	v_dual_add_f32 v0, v65, v73 :: v_dual_add_f32 v1, v66, v74
	v_dual_add_f32 v2, v67, v75 :: v_dual_add_f32 v3, v68, v76
	s_wait_kmcnt 0x0
	s_delay_alu instid0(VALU_DEP_2) | instskip(NEXT) | instid1(VALU_DEP_2)
	v_dual_mul_f32 v0, s34, v0 :: v_dual_mul_f32 v1, s34, v1
	v_dual_mul_f32 v2, s34, v2 :: v_dual_mul_f32 v3, s34, v3
	s_wait_loadcnt 0x0
	global_store_b128 v4, v[0:3], s[0:1]
.LBB12_74:
	s_or_b32 exec_lo, exec_lo, s29
	v_dual_sub_f32 v179, v69, v77 :: v_dual_sub_f32 v196, v70, v78
	v_dual_sub_f32 v197, v71, v79 :: v_dual_sub_f32 v198, v72, v80
	;; [unrolled: 1-line block ×8, first 2 shown]
	v_dual_add_f32 v81, v179, v205 :: v_dual_add_f32 v82, v196, v206
	v_dual_add_f32 v83, v197, v207 :: v_dual_add_f32 v84, v198, v208
	s_delay_alu instid0(VALU_DEP_4) | instskip(NEXT) | instid1(VALU_DEP_4)
	v_dual_add_f32 v89, v209, v229 :: v_dual_add_f32 v90, v210, v230
	v_dual_add_f32 v91, v211, v231 :: v_dual_add_f32 v92, v212, v232
	s_and_saveexec_b32 s28, s27
	s_cbranch_execz .LBB12_76
; %bb.75:
	scratch_load_b32 v4, off, off offset:196 th:TH_LOAD_LU ; 4-byte Folded Reload
	v_dual_add_f32 v0, v81, v89 :: v_dual_add_f32 v1, v82, v90
	v_dual_add_f32 v2, v83, v91 :: v_dual_add_f32 v3, v84, v92
	s_wait_kmcnt 0x0
	s_delay_alu instid0(VALU_DEP_2) | instskip(NEXT) | instid1(VALU_DEP_2)
	v_dual_mul_f32 v0, s34, v0 :: v_dual_mul_f32 v1, s34, v1
	v_dual_mul_f32 v2, s34, v2 :: v_dual_mul_f32 v3, s34, v3
	s_wait_loadcnt 0x0
	global_store_b128 v4, v[0:3], s[0:1]
.LBB12_76:
	s_or_b32 exec_lo, exec_lo, s28
	v_dual_sub_f32 v178, v105, v109 :: v_dual_sub_f32 v199, v106, v110
	v_dual_sub_f32 v200, v107, v111 :: v_dual_sub_f32 v201, v108, v112
	;; [unrolled: 1-line block ×6, first 2 shown]
	s_delay_alu instid0(VALU_DEP_3) | instskip(SKIP_3) | instid1(VALU_DEP_3)
	v_dual_sub_f32 v233, v175, v137 :: v_dual_add_f32 v100, v201, v216
	v_dual_sub_f32 v234, v167, v139 :: v_dual_sub_f32 v235, v133, v141
	v_dual_sub_f32 v236, v135, v143 :: v_dual_add_f32 v97, v178, v213
	v_dual_add_f32 v98, v199, v214 :: v_dual_add_f32 v99, v200, v215
	v_dual_add_f32 v105, v217, v233 :: v_dual_add_f32 v106, v218, v234
	s_delay_alu instid0(VALU_DEP_3)
	v_dual_add_f32 v107, v219, v235 :: v_dual_add_f32 v108, v220, v236
	s_and_saveexec_b32 s27, s24
	s_cbranch_execz .LBB12_78
; %bb.77:
	scratch_load_b32 v4, off, off offset:188 th:TH_LOAD_LU ; 4-byte Folded Reload
	v_dual_add_f32 v0, v97, v105 :: v_dual_add_f32 v1, v98, v106
	v_dual_add_f32 v2, v99, v107 :: v_dual_add_f32 v3, v100, v108
	s_wait_kmcnt 0x0
	s_delay_alu instid0(VALU_DEP_2) | instskip(NEXT) | instid1(VALU_DEP_2)
	v_dual_mul_f32 v0, s34, v0 :: v_dual_mul_f32 v1, s34, v1
	v_dual_mul_f32 v2, s34, v2 :: v_dual_mul_f32 v3, s34, v3
	s_wait_loadcnt 0x0
	global_store_b128 v4, v[0:3], s[0:1]
.LBB12_78:
	s_or_b32 exec_lo, exec_lo, s27
	v_dual_sub_f32 v176, v145, v48 :: v_dual_sub_f32 v221, v132, v153
	v_dual_sub_f32 v202, v147, v129 :: v_dual_sub_f32 v203, v149, v130
	v_dual_sub_f32 v204, v151, v131 :: v_dual_sub_f32 v223, v140, v157
	v_dual_sub_f32 v222, v138, v155 :: v_dual_sub_f32 v225, v161, v177
	v_dual_sub_f32 v224, v142, v159 :: v_dual_sub_f32 v237, v237, v8
	v_dual_sub_f32 v226, v163, v226 :: v_dual_sub_f32 v227, v165, v227
	v_dual_sub_f32 v228, v169, v228 :: v_dual_sub_f32 v239, v239, v10
	v_dual_sub_f32 v238, v238, v9 :: v_dual_add_f32 v115, v203, v223
	s_delay_alu instid0(VALU_DEP_4) | instskip(SKIP_1) | instid1(VALU_DEP_4)
	v_dual_sub_f32 v240, v240, v11 :: v_dual_add_f32 v117, v225, v237
	v_dual_add_f32 v113, v176, v221 :: v_dual_add_f32 v114, v202, v222
	v_dual_add_f32 v116, v204, v224 :: v_dual_add_f32 v119, v227, v239
	s_delay_alu instid0(VALU_DEP_4) | instskip(NEXT) | instid1(VALU_DEP_4)
	v_add_f32_e32 v118, v226, v238
	v_add_f32_e32 v120, v228, v240
	s_and_saveexec_b32 s24, vcc_lo
	s_cbranch_execz .LBB12_80
; %bb.79:
	scratch_load_b32 v4, off, off offset:160 th:TH_LOAD_LU ; 4-byte Folded Reload
	v_dual_add_f32 v0, v113, v117 :: v_dual_add_f32 v1, v114, v118
	v_dual_add_f32 v2, v115, v119 :: v_dual_add_f32 v3, v116, v120
	s_wait_kmcnt 0x0
	s_delay_alu instid0(VALU_DEP_2) | instskip(NEXT) | instid1(VALU_DEP_2)
	v_dual_mul_f32 v0, s34, v0 :: v_dual_mul_f32 v1, s34, v1
	v_dual_mul_f32 v2, s34, v2 :: v_dual_mul_f32 v3, s34, v3
	s_wait_loadcnt 0x0
	global_store_b128 v4, v[0:3], s[0:1]
.LBB12_80:
	s_or_b32 exec_lo, exec_lo, s24
	scratch_load_b32 v0, off, off offset:8 th:TH_LOAD_LU ; 4-byte Folded Reload
	v_sub_f32_e32 v109, v156, v164
	v_dual_sub_f32 v111, v160, v168 :: v_dual_sub_f32 v110, v158, v166
	s_wait_loadcnt 0x0
	v_dual_sub_f32 v112, v162, v170 :: v_dual_sub_f32 v101, v0, v148
	scratch_load_b32 v0, off, off offset:12 th:TH_LOAD_LU ; 4-byte Folded Reload
	s_wait_loadcnt 0x0
	v_sub_f32_e32 v102, v0, v150
	scratch_load_b32 v0, off, off offset:16 th:TH_LOAD_LU ; 4-byte Folded Reload
	s_wait_loadcnt 0x0
	v_sub_f32_e32 v103, v0, v152
	;; [unrolled: 3-line block ×3, first 2 shown]
	s_and_saveexec_b32 s24, s7
	s_cbranch_execz .LBB12_82
; %bb.81:
	scratch_load_b32 v4, off, off offset:164 th:TH_LOAD_LU ; 4-byte Folded Reload
	v_dual_add_f32 v0, v101, v109 :: v_dual_add_f32 v1, v102, v110
	v_dual_add_f32 v2, v103, v111 :: v_dual_add_f32 v3, v104, v112
	s_wait_kmcnt 0x0
	s_delay_alu instid0(VALU_DEP_2) | instskip(NEXT) | instid1(VALU_DEP_2)
	v_dual_mul_f32 v0, s34, v0 :: v_dual_mul_f32 v1, s34, v1
	v_dual_mul_f32 v2, s34, v2 :: v_dual_mul_f32 v3, s34, v3
	s_wait_loadcnt 0x0
	global_store_b128 v4, v[0:3], s[0:1]
.LBB12_82:
	s_or_b32 exec_lo, exec_lo, s24
	v_dual_sub_f32 v85, v16, v20 :: v_dual_sub_f32 v86, v17, v21
	v_dual_sub_f32 v87, v18, v22 :: v_dual_sub_f32 v88, v19, v23
	v_dual_sub_f32 v93, v24, v28 :: v_dual_sub_f32 v94, v25, v29
	v_dual_sub_f32 v95, v26, v30 :: v_dual_sub_f32 v96, v27, v31
	s_and_saveexec_b32 s7, s12
	s_cbranch_execz .LBB12_84
; %bb.83:
	scratch_load_b32 v4, off, off offset:168 th:TH_LOAD_LU ; 4-byte Folded Reload
	v_dual_add_f32 v0, v85, v93 :: v_dual_add_f32 v1, v86, v94
	v_dual_add_f32 v2, v87, v95 :: v_dual_add_f32 v3, v88, v96
	s_wait_kmcnt 0x0
	s_delay_alu instid0(VALU_DEP_2) | instskip(NEXT) | instid1(VALU_DEP_2)
	v_dual_mul_f32 v0, s34, v0 :: v_dual_mul_f32 v1, s34, v1
	v_dual_mul_f32 v2, s34, v2 :: v_dual_mul_f32 v3, s34, v3
	s_wait_loadcnt 0x0
	global_store_b128 v4, v[0:3], s[0:1]
.LBB12_84:
	s_wait_alu 0xfffe
	s_or_b32 exec_lo, exec_lo, s7
	v_dual_sub_f32 v69, v32, v36 :: v_dual_sub_f32 v70, v33, v37
	v_dual_sub_f32 v71, v34, v38 :: v_dual_sub_f32 v72, v35, v39
	v_dual_sub_f32 v77, v44, v49 :: v_dual_sub_f32 v78, v45, v50
	v_dual_sub_f32 v79, v46, v51 :: v_dual_sub_f32 v80, v47, v52
	s_and_saveexec_b32 s7, s22
	s_cbranch_execz .LBB12_86
; %bb.85:
	scratch_load_b32 v4, off, off offset:180 th:TH_LOAD_LU ; 4-byte Folded Reload
	v_dual_add_f32 v0, v69, v77 :: v_dual_add_f32 v1, v70, v78
	v_dual_add_f32 v2, v71, v79 :: v_dual_add_f32 v3, v72, v80
	s_wait_kmcnt 0x0
	s_delay_alu instid0(VALU_DEP_2) | instskip(NEXT) | instid1(VALU_DEP_2)
	v_dual_mul_f32 v0, s34, v0 :: v_dual_mul_f32 v1, s34, v1
	v_dual_mul_f32 v2, s34, v2 :: v_dual_mul_f32 v3, s34, v3
	s_wait_loadcnt 0x0
	global_store_b128 v4, v[0:3], s[0:1]
.LBB12_86:
	s_wait_alu 0xfffe
	;; [unrolled: 19-line block ×4, first 2 shown]
	s_or_b32 exec_lo, exec_lo, s7
	v_dual_sub_f32 v16, v179, v205 :: v_dual_sub_f32 v17, v196, v206
	v_dual_sub_f32 v18, v197, v207 :: v_dual_sub_f32 v19, v198, v208
	;; [unrolled: 1-line block ×4, first 2 shown]
	s_and_saveexec_b32 s7, s26
	s_cbranch_execz .LBB12_92
; %bb.91:
	scratch_load_b64 v[0:1], off, off offset:172 th:TH_LOAD_LU ; 8-byte Folded Reload
	v_dual_add_f32 v2, v18, v22 :: v_dual_add_f32 v3, v19, v23
	v_mov_b32_e32 v5, 0
	s_wait_loadcnt 0x0
	s_wait_kmcnt 0x0
	s_delay_alu instid0(VALU_DEP_2) | instskip(SKIP_1) | instid1(VALU_DEP_2)
	v_dual_add_f32 v1, v17, v21 :: v_dual_mul_f32 v2, s34, v2
	v_mul_f32_e32 v3, s34, v3
	v_dual_mul_f32 v1, s34, v1 :: v_dual_mov_b32 v4, v0
	v_add_f32_e32 v0, v16, v20
	s_delay_alu instid0(VALU_DEP_2) | instskip(NEXT) | instid1(VALU_DEP_2)
	v_lshlrev_b64_e32 v[4:5], 4, v[4:5]
	v_mul_f32_e32 v0, s34, v0
	s_delay_alu instid0(VALU_DEP_2) | instskip(NEXT) | instid1(VALU_DEP_1)
	v_add_co_u32 v4, vcc_lo, s0, v4
	v_add_co_ci_u32_e64 v5, null, s1, v5, vcc_lo
	global_store_b128 v[4:5], v[0:3], off
.LBB12_92:
	s_wait_alu 0xfffe
	s_or_b32 exec_lo, exec_lo, s7
	v_dual_sub_f32 v28, v178, v213 :: v_dual_sub_f32 v29, v199, v214
	v_dual_sub_f32 v30, v200, v215 :: v_dual_sub_f32 v31, v201, v216
	;; [unrolled: 1-line block ×4, first 2 shown]
	s_and_saveexec_b32 s7, s19
	s_cbranch_execz .LBB12_94
; %bb.93:
	scratch_load_b64 v[0:1], off, off offset:152 th:TH_LOAD_LU ; 8-byte Folded Reload
	v_dual_add_f32 v2, v30, v38 :: v_dual_add_f32 v3, v31, v39
	v_mov_b32_e32 v5, 0
	s_wait_loadcnt 0x0
	s_wait_kmcnt 0x0
	s_delay_alu instid0(VALU_DEP_2) | instskip(SKIP_1) | instid1(VALU_DEP_2)
	v_dual_add_f32 v1, v29, v37 :: v_dual_mul_f32 v2, s34, v2
	v_mul_f32_e32 v3, s34, v3
	v_dual_mul_f32 v1, s34, v1 :: v_dual_mov_b32 v4, v0
	v_add_f32_e32 v0, v28, v36
	s_delay_alu instid0(VALU_DEP_2) | instskip(NEXT) | instid1(VALU_DEP_2)
	v_lshlrev_b64_e32 v[4:5], 4, v[4:5]
	v_mul_f32_e32 v0, s34, v0
	s_delay_alu instid0(VALU_DEP_2) | instskip(SKIP_1) | instid1(VALU_DEP_3)
	v_add_co_u32 v4, vcc_lo, s0, v4
	s_wait_alu 0xfffd
	v_add_co_ci_u32_e64 v5, null, s1, v5, vcc_lo
	global_store_b128 v[4:5], v[0:3], off
.LBB12_94:
	s_wait_alu 0xfffe
	s_or_b32 exec_lo, exec_lo, s7
	v_dual_sub_f32 v49, v176, v221 :: v_dual_sub_f32 v50, v202, v222
	v_dual_sub_f32 v51, v203, v223 :: v_dual_sub_f32 v52, v204, v224
	;; [unrolled: 1-line block ×4, first 2 shown]
	s_and_saveexec_b32 s7, s2
	s_cbranch_execnz .LBB12_112
; %bb.95:
	s_wait_alu 0xfffe
	s_or_b32 exec_lo, exec_lo, s7
	s_and_saveexec_b32 s2, s3
	s_cbranch_execnz .LBB12_113
.LBB12_96:
	s_wait_alu 0xfffe
	s_or_b32 exec_lo, exec_lo, s2
	s_and_saveexec_b32 s2, s4
	s_cbranch_execnz .LBB12_114
.LBB12_97:
	s_wait_alu 0xfffe
	s_or_b32 exec_lo, exec_lo, s2
	s_and_saveexec_b32 s2, s5
	s_cbranch_execnz .LBB12_115
.LBB12_98:
	s_wait_alu 0xfffe
	s_or_b32 exec_lo, exec_lo, s2
	s_and_saveexec_b32 s2, s6
	s_cbranch_execnz .LBB12_116
.LBB12_99:
	s_wait_alu 0xfffe
	s_or_b32 exec_lo, exec_lo, s2
	s_and_saveexec_b32 s2, s8
	s_cbranch_execnz .LBB12_117
.LBB12_100:
	s_wait_alu 0xfffe
	s_or_b32 exec_lo, exec_lo, s2
	s_and_saveexec_b32 s2, s9
	s_cbranch_execnz .LBB12_118
.LBB12_101:
	s_wait_alu 0xfffe
	s_or_b32 exec_lo, exec_lo, s2
	s_and_saveexec_b32 s2, s10
	s_cbranch_execnz .LBB12_119
.LBB12_102:
	s_wait_alu 0xfffe
	s_or_b32 exec_lo, exec_lo, s2
	s_and_saveexec_b32 s2, s11
	s_cbranch_execnz .LBB12_120
.LBB12_103:
	s_wait_alu 0xfffe
	s_or_b32 exec_lo, exec_lo, s2
	s_and_saveexec_b32 s2, s13
	s_cbranch_execnz .LBB12_121
.LBB12_104:
	s_wait_alu 0xfffe
	s_or_b32 exec_lo, exec_lo, s2
	s_and_saveexec_b32 s2, s14
	s_cbranch_execnz .LBB12_122
.LBB12_105:
	s_wait_alu 0xfffe
	s_or_b32 exec_lo, exec_lo, s2
	s_and_saveexec_b32 s2, s15
	s_cbranch_execnz .LBB12_123
.LBB12_106:
	s_wait_alu 0xfffe
	s_or_b32 exec_lo, exec_lo, s2
	s_and_saveexec_b32 s2, s16
	s_cbranch_execnz .LBB12_124
.LBB12_107:
	s_wait_alu 0xfffe
	s_or_b32 exec_lo, exec_lo, s2
	s_and_saveexec_b32 s2, s17
	s_cbranch_execnz .LBB12_125
.LBB12_108:
	s_wait_alu 0xfffe
	s_or_b32 exec_lo, exec_lo, s2
	s_and_saveexec_b32 s2, s18
	s_cbranch_execnz .LBB12_126
.LBB12_109:
	s_wait_alu 0xfffe
	s_or_b32 exec_lo, exec_lo, s2
	s_and_saveexec_b32 s2, s20
	s_cbranch_execnz .LBB12_127
.LBB12_110:
	s_wait_alu 0xfffe
	s_or_b32 exec_lo, exec_lo, s2
	s_and_saveexec_b32 s2, s21
	s_cbranch_execnz .LBB12_128
.LBB12_111:
	s_nop 0
	s_sendmsg sendmsg(MSG_DEALLOC_VGPRS)
	s_endpgm
.LBB12_112:
	scratch_load_b64 v[0:1], off, off offset:32 th:TH_LOAD_LU ; 8-byte Folded Reload
	v_dual_add_f32 v2, v51, v63 :: v_dual_add_f32 v3, v52, v64
	v_mov_b32_e32 v5, 0
	s_wait_loadcnt 0x0
	v_add_f32_e32 v1, v50, v62
	s_wait_kmcnt 0x0
	v_dual_mul_f32 v2, s34, v2 :: v_dual_mul_f32 v3, s34, v3
	s_delay_alu instid0(VALU_DEP_2) | instskip(SKIP_1) | instid1(VALU_DEP_2)
	v_dual_mul_f32 v1, s34, v1 :: v_dual_mov_b32 v4, v0
	v_add_f32_e32 v0, v49, v61
	v_lshlrev_b64_e32 v[4:5], 4, v[4:5]
	s_delay_alu instid0(VALU_DEP_2) | instskip(NEXT) | instid1(VALU_DEP_2)
	v_mul_f32_e32 v0, s34, v0
	v_add_co_u32 v4, vcc_lo, s0, v4
	s_wait_alu 0xfffd
	s_delay_alu instid0(VALU_DEP_3)
	v_add_co_ci_u32_e64 v5, null, s1, v5, vcc_lo
	global_store_b128 v[4:5], v[0:3], off
	s_wait_alu 0xfffe
	s_or_b32 exec_lo, exec_lo, s7
	s_and_saveexec_b32 s2, s3
	s_cbranch_execz .LBB12_96
.LBB12_113:
	scratch_load_b64 v[0:1], off, off offset:24 th:TH_LOAD_LU ; 8-byte Folded Reload
	s_wait_loadcnt 0x0
	v_dual_mov_b32 v5, 0 :: v_dual_mov_b32 v4, v0
	s_clause 0x1
	scratch_load_b32 v0, off, off offset:216 th:TH_LOAD_LU
	scratch_load_b32 v1, off, off offset:232 th:TH_LOAD_LU
	v_lshlrev_b64_e32 v[4:5], 4, v[4:5]
	s_delay_alu instid0(VALU_DEP_1) | instskip(SKIP_1) | instid1(VALU_DEP_2)
	v_add_co_u32 v4, vcc_lo, s0, v4
	s_wait_alu 0xfffd
	v_add_co_ci_u32_e64 v5, null, s1, v5, vcc_lo
	s_wait_loadcnt 0x0
	v_sub_f32_e32 v0, v0, v1
	s_clause 0x1
	scratch_load_b32 v1, off, off offset:220 th:TH_LOAD_LU
	scratch_load_b32 v2, off, off offset:236 th:TH_LOAD_LU
	s_wait_loadcnt 0x0
	v_sub_f32_e32 v1, v1, v2
	s_clause 0x1
	scratch_load_b32 v2, off, off offset:224 th:TH_LOAD_LU
	scratch_load_b32 v3, off, off offset:240 th:TH_LOAD_LU
	s_wait_kmcnt 0x0
	v_dual_mul_f32 v0, s34, v0 :: v_dual_mul_f32 v1, s34, v1
	s_wait_loadcnt 0x0
	v_sub_f32_e32 v2, v2, v3
	s_clause 0x1
	scratch_load_b32 v3, off, off offset:228 th:TH_LOAD_LU
	scratch_load_b32 v6, off, off offset:244 th:TH_LOAD_LU
	s_wait_loadcnt 0x0
	v_sub_f32_e32 v3, v3, v6
	s_delay_alu instid0(VALU_DEP_1)
	v_dual_mul_f32 v2, s34, v2 :: v_dual_mul_f32 v3, s34, v3
	global_store_b128 v[4:5], v[0:3], off
	s_wait_alu 0xfffe
	s_or_b32 exec_lo, exec_lo, s2
	s_and_saveexec_b32 s2, s4
	s_cbranch_execz .LBB12_97
.LBB12_114:
	scratch_load_b64 v[0:1], off, off offset:48 th:TH_LOAD_LU ; 8-byte Folded Reload
	s_wait_loadcnt 0x0
	v_dual_mov_b32 v5, 0 :: v_dual_mov_b32 v4, v0
	s_clause 0x1
	scratch_load_b32 v0, off, off offset:248 th:TH_LOAD_LU
	scratch_load_b32 v1, off, off offset:264 th:TH_LOAD_LU
	v_lshlrev_b64_e32 v[4:5], 4, v[4:5]
	s_delay_alu instid0(VALU_DEP_1) | instskip(SKIP_1) | instid1(VALU_DEP_2)
	v_add_co_u32 v4, vcc_lo, s0, v4
	s_wait_alu 0xfffd
	v_add_co_ci_u32_e64 v5, null, s1, v5, vcc_lo
	s_wait_loadcnt 0x0
	v_sub_f32_e32 v0, v0, v1
	s_clause 0x1
	scratch_load_b32 v1, off, off offset:252 th:TH_LOAD_LU
	scratch_load_b32 v2, off, off offset:268 th:TH_LOAD_LU
	s_wait_loadcnt 0x0
	v_sub_f32_e32 v1, v1, v2
	s_clause 0x1
	scratch_load_b32 v2, off, off offset:256 th:TH_LOAD_LU
	scratch_load_b32 v3, off, off offset:272 th:TH_LOAD_LU
	s_wait_kmcnt 0x0
	v_dual_mul_f32 v0, s34, v0 :: v_dual_mul_f32 v1, s34, v1
	s_wait_loadcnt 0x0
	v_sub_f32_e32 v2, v2, v3
	s_clause 0x1
	scratch_load_b32 v3, off, off offset:260 th:TH_LOAD_LU
	scratch_load_b32 v6, off, off offset:276 th:TH_LOAD_LU
	s_wait_loadcnt 0x0
	v_sub_f32_e32 v3, v3, v6
	s_delay_alu instid0(VALU_DEP_1)
	v_dual_mul_f32 v2, s34, v2 :: v_dual_mul_f32 v3, s34, v3
	global_store_b128 v[4:5], v[0:3], off
	s_wait_alu 0xfffe
	s_or_b32 exec_lo, exec_lo, s2
	s_and_saveexec_b32 s2, s5
	s_cbranch_execz .LBB12_98
.LBB12_115:
	scratch_load_b64 v[0:1], off, off offset:40 th:TH_LOAD_LU ; 8-byte Folded Reload
	v_dual_sub_f32 v2, v243, v247 :: v_dual_sub_f32 v3, v244, v248
	v_mov_b32_e32 v5, 0
	s_wait_loadcnt 0x0
	v_sub_f32_e32 v1, v242, v246
	s_wait_kmcnt 0x0
	v_dual_mul_f32 v2, s34, v2 :: v_dual_mul_f32 v3, s34, v3
	s_delay_alu instid0(VALU_DEP_2) | instskip(SKIP_1) | instid1(VALU_DEP_2)
	v_dual_mul_f32 v1, s34, v1 :: v_dual_mov_b32 v4, v0
	v_sub_f32_e32 v0, v241, v245
	v_lshlrev_b64_e32 v[4:5], 4, v[4:5]
	s_delay_alu instid0(VALU_DEP_2) | instskip(NEXT) | instid1(VALU_DEP_2)
	v_mul_f32_e32 v0, s34, v0
	v_add_co_u32 v4, vcc_lo, s0, v4
	s_wait_alu 0xfffd
	s_delay_alu instid0(VALU_DEP_3)
	v_add_co_ci_u32_e64 v5, null, s1, v5, vcc_lo
	global_store_b128 v[4:5], v[0:3], off
	s_wait_alu 0xfffe
	s_or_b32 exec_lo, exec_lo, s2
	s_and_saveexec_b32 s2, s6
	s_cbranch_execz .LBB12_99
.LBB12_116:
	scratch_load_b64 v[0:1], off, off offset:64 th:TH_LOAD_LU ; 8-byte Folded Reload
	v_dual_sub_f32 v2, v42, v55 :: v_dual_sub_f32 v3, v43, v56
	v_mov_b32_e32 v5, 0
	s_wait_loadcnt 0x0
	v_sub_f32_e32 v1, v41, v54
	s_wait_kmcnt 0x0
	v_dual_mul_f32 v2, s34, v2 :: v_dual_mul_f32 v3, s34, v3
	s_delay_alu instid0(VALU_DEP_2) | instskip(SKIP_1) | instid1(VALU_DEP_2)
	v_dual_mul_f32 v1, s34, v1 :: v_dual_mov_b32 v4, v0
	v_sub_f32_e32 v0, v40, v53
	v_lshlrev_b64_e32 v[4:5], 4, v[4:5]
	s_delay_alu instid0(VALU_DEP_2) | instskip(NEXT) | instid1(VALU_DEP_2)
	v_mul_f32_e32 v0, s34, v0
	v_add_co_u32 v4, vcc_lo, s0, v4
	s_wait_alu 0xfffd
	s_delay_alu instid0(VALU_DEP_3)
	v_add_co_ci_u32_e64 v5, null, s1, v5, vcc_lo
	global_store_b128 v[4:5], v[0:3], off
	s_wait_alu 0xfffe
	s_or_b32 exec_lo, exec_lo, s2
	s_and_saveexec_b32 s2, s8
	s_cbranch_execz .LBB12_100
.LBB12_117:
	scratch_load_b64 v[0:1], off, off offset:56 th:TH_LOAD_LU ; 8-byte Folded Reload
	v_dual_sub_f32 v2, v67, v75 :: v_dual_sub_f32 v3, v68, v76
	v_mov_b32_e32 v5, 0
	s_wait_loadcnt 0x0
	v_sub_f32_e32 v1, v66, v74
	s_wait_kmcnt 0x0
	v_dual_mul_f32 v2, s34, v2 :: v_dual_mul_f32 v3, s34, v3
	s_delay_alu instid0(VALU_DEP_2) | instskip(SKIP_1) | instid1(VALU_DEP_2)
	v_dual_mul_f32 v1, s34, v1 :: v_dual_mov_b32 v4, v0
	v_sub_f32_e32 v0, v65, v73
	v_lshlrev_b64_e32 v[4:5], 4, v[4:5]
	s_delay_alu instid0(VALU_DEP_2) | instskip(NEXT) | instid1(VALU_DEP_2)
	v_mul_f32_e32 v0, s34, v0
	v_add_co_u32 v4, vcc_lo, s0, v4
	s_wait_alu 0xfffd
	s_delay_alu instid0(VALU_DEP_3)
	v_add_co_ci_u32_e64 v5, null, s1, v5, vcc_lo
	global_store_b128 v[4:5], v[0:3], off
	s_wait_alu 0xfffe
	s_or_b32 exec_lo, exec_lo, s2
	s_and_saveexec_b32 s2, s9
	s_cbranch_execz .LBB12_101
.LBB12_118:
	scratch_load_b64 v[0:1], off, off offset:80 th:TH_LOAD_LU ; 8-byte Folded Reload
	v_dual_sub_f32 v2, v83, v91 :: v_dual_sub_f32 v3, v84, v92
	v_mov_b32_e32 v5, 0
	s_wait_loadcnt 0x0
	v_sub_f32_e32 v1, v82, v90
	s_wait_kmcnt 0x0
	v_dual_mul_f32 v2, s34, v2 :: v_dual_mul_f32 v3, s34, v3
	s_delay_alu instid0(VALU_DEP_2) | instskip(SKIP_1) | instid1(VALU_DEP_2)
	v_dual_mul_f32 v1, s34, v1 :: v_dual_mov_b32 v4, v0
	v_sub_f32_e32 v0, v81, v89
	v_lshlrev_b64_e32 v[4:5], 4, v[4:5]
	s_delay_alu instid0(VALU_DEP_2) | instskip(NEXT) | instid1(VALU_DEP_2)
	v_mul_f32_e32 v0, s34, v0
	v_add_co_u32 v4, vcc_lo, s0, v4
	s_wait_alu 0xfffd
	s_delay_alu instid0(VALU_DEP_3)
	v_add_co_ci_u32_e64 v5, null, s1, v5, vcc_lo
	global_store_b128 v[4:5], v[0:3], off
	s_wait_alu 0xfffe
	s_or_b32 exec_lo, exec_lo, s2
	s_and_saveexec_b32 s2, s10
	s_cbranch_execz .LBB12_102
.LBB12_119:
	scratch_load_b64 v[0:1], off, off offset:72 th:TH_LOAD_LU ; 8-byte Folded Reload
	v_dual_sub_f32 v2, v99, v107 :: v_dual_sub_f32 v3, v100, v108
	v_mov_b32_e32 v5, 0
	s_wait_loadcnt 0x0
	v_sub_f32_e32 v1, v98, v106
	s_wait_kmcnt 0x0
	v_dual_mul_f32 v2, s34, v2 :: v_dual_mul_f32 v3, s34, v3
	s_delay_alu instid0(VALU_DEP_2) | instskip(SKIP_1) | instid1(VALU_DEP_2)
	v_dual_mul_f32 v1, s34, v1 :: v_dual_mov_b32 v4, v0
	v_sub_f32_e32 v0, v97, v105
	v_lshlrev_b64_e32 v[4:5], 4, v[4:5]
	s_delay_alu instid0(VALU_DEP_2) | instskip(NEXT) | instid1(VALU_DEP_2)
	v_mul_f32_e32 v0, s34, v0
	v_add_co_u32 v4, vcc_lo, s0, v4
	s_wait_alu 0xfffd
	s_delay_alu instid0(VALU_DEP_3)
	v_add_co_ci_u32_e64 v5, null, s1, v5, vcc_lo
	global_store_b128 v[4:5], v[0:3], off
	s_wait_alu 0xfffe
	s_or_b32 exec_lo, exec_lo, s2
	s_and_saveexec_b32 s2, s11
	s_cbranch_execz .LBB12_103
.LBB12_120:
	scratch_load_b64 v[0:1], off, off offset:96 th:TH_LOAD_LU ; 8-byte Folded Reload
	v_dual_sub_f32 v2, v115, v119 :: v_dual_sub_f32 v3, v116, v120
	v_mov_b32_e32 v5, 0
	s_wait_loadcnt 0x0
	v_sub_f32_e32 v1, v114, v118
	s_wait_kmcnt 0x0
	v_dual_mul_f32 v2, s34, v2 :: v_dual_mul_f32 v3, s34, v3
	s_delay_alu instid0(VALU_DEP_2) | instskip(SKIP_1) | instid1(VALU_DEP_2)
	v_dual_mul_f32 v1, s34, v1 :: v_dual_mov_b32 v4, v0
	v_sub_f32_e32 v0, v113, v117
	v_lshlrev_b64_e32 v[4:5], 4, v[4:5]
	s_delay_alu instid0(VALU_DEP_2) | instskip(NEXT) | instid1(VALU_DEP_2)
	v_mul_f32_e32 v0, s34, v0
	v_add_co_u32 v4, vcc_lo, s0, v4
	s_wait_alu 0xfffd
	s_delay_alu instid0(VALU_DEP_3)
	v_add_co_ci_u32_e64 v5, null, s1, v5, vcc_lo
	global_store_b128 v[4:5], v[0:3], off
	s_wait_alu 0xfffe
	s_or_b32 exec_lo, exec_lo, s2
	s_and_saveexec_b32 s2, s13
	s_cbranch_execz .LBB12_104
.LBB12_121:
	scratch_load_b64 v[0:1], off, off offset:88 th:TH_LOAD_LU ; 8-byte Folded Reload
	v_dual_sub_f32 v2, v103, v111 :: v_dual_sub_f32 v3, v104, v112
	v_mov_b32_e32 v5, 0
	s_wait_loadcnt 0x0
	v_sub_f32_e32 v1, v102, v110
	s_wait_kmcnt 0x0
	v_dual_mul_f32 v2, s34, v2 :: v_dual_mul_f32 v3, s34, v3
	s_delay_alu instid0(VALU_DEP_2) | instskip(SKIP_1) | instid1(VALU_DEP_2)
	v_dual_mul_f32 v1, s34, v1 :: v_dual_mov_b32 v4, v0
	v_sub_f32_e32 v0, v101, v109
	v_lshlrev_b64_e32 v[4:5], 4, v[4:5]
	s_delay_alu instid0(VALU_DEP_2) | instskip(NEXT) | instid1(VALU_DEP_2)
	v_mul_f32_e32 v0, s34, v0
	v_add_co_u32 v4, vcc_lo, s0, v4
	s_wait_alu 0xfffd
	s_delay_alu instid0(VALU_DEP_3)
	v_add_co_ci_u32_e64 v5, null, s1, v5, vcc_lo
	global_store_b128 v[4:5], v[0:3], off
	s_wait_alu 0xfffe
	s_or_b32 exec_lo, exec_lo, s2
	s_and_saveexec_b32 s2, s14
	s_cbranch_execz .LBB12_105
.LBB12_122:
	scratch_load_b64 v[0:1], off, off offset:112 th:TH_LOAD_LU ; 8-byte Folded Reload
	v_dual_sub_f32 v2, v87, v95 :: v_dual_sub_f32 v3, v88, v96
	v_mov_b32_e32 v5, 0
	s_wait_loadcnt 0x0
	v_sub_f32_e32 v1, v86, v94
	s_wait_kmcnt 0x0
	v_dual_mul_f32 v2, s34, v2 :: v_dual_mul_f32 v3, s34, v3
	s_delay_alu instid0(VALU_DEP_2) | instskip(SKIP_1) | instid1(VALU_DEP_2)
	v_dual_mul_f32 v1, s34, v1 :: v_dual_mov_b32 v4, v0
	v_sub_f32_e32 v0, v85, v93
	v_lshlrev_b64_e32 v[4:5], 4, v[4:5]
	s_delay_alu instid0(VALU_DEP_2) | instskip(NEXT) | instid1(VALU_DEP_2)
	v_mul_f32_e32 v0, s34, v0
	v_add_co_u32 v4, vcc_lo, s0, v4
	s_wait_alu 0xfffd
	s_delay_alu instid0(VALU_DEP_3)
	v_add_co_ci_u32_e64 v5, null, s1, v5, vcc_lo
	global_store_b128 v[4:5], v[0:3], off
	s_wait_alu 0xfffe
	s_or_b32 exec_lo, exec_lo, s2
	s_and_saveexec_b32 s2, s15
	s_cbranch_execz .LBB12_106
.LBB12_123:
	scratch_load_b64 v[0:1], off, off offset:104 th:TH_LOAD_LU ; 8-byte Folded Reload
	v_dual_sub_f32 v2, v71, v79 :: v_dual_sub_f32 v3, v72, v80
	v_mov_b32_e32 v5, 0
	s_wait_loadcnt 0x0
	v_sub_f32_e32 v1, v70, v78
	s_wait_kmcnt 0x0
	v_dual_mul_f32 v2, s34, v2 :: v_dual_mul_f32 v3, s34, v3
	s_delay_alu instid0(VALU_DEP_2) | instskip(SKIP_1) | instid1(VALU_DEP_2)
	v_dual_mul_f32 v1, s34, v1 :: v_dual_mov_b32 v4, v0
	v_sub_f32_e32 v0, v69, v77
	v_lshlrev_b64_e32 v[4:5], 4, v[4:5]
	s_delay_alu instid0(VALU_DEP_2) | instskip(NEXT) | instid1(VALU_DEP_2)
	v_mul_f32_e32 v0, s34, v0
	v_add_co_u32 v4, vcc_lo, s0, v4
	s_wait_alu 0xfffd
	s_delay_alu instid0(VALU_DEP_3)
	v_add_co_ci_u32_e64 v5, null, s1, v5, vcc_lo
	global_store_b128 v[4:5], v[0:3], off
	s_wait_alu 0xfffe
	s_or_b32 exec_lo, exec_lo, s2
	s_and_saveexec_b32 s2, s16
	s_cbranch_execz .LBB12_107
.LBB12_124:
	scratch_load_b64 v[0:1], off, off offset:128 th:TH_LOAD_LU ; 8-byte Folded Reload
	v_dual_sub_f32 v2, v46, v59 :: v_dual_sub_f32 v3, v47, v60
	v_mov_b32_e32 v5, 0
	s_wait_loadcnt 0x0
	v_sub_f32_e32 v1, v45, v58
	s_wait_kmcnt 0x0
	v_dual_mul_f32 v2, s34, v2 :: v_dual_mul_f32 v3, s34, v3
	s_delay_alu instid0(VALU_DEP_2) | instskip(SKIP_1) | instid1(VALU_DEP_2)
	v_dual_mul_f32 v1, s34, v1 :: v_dual_mov_b32 v4, v0
	v_sub_f32_e32 v0, v44, v57
	v_lshlrev_b64_e32 v[4:5], 4, v[4:5]
	s_delay_alu instid0(VALU_DEP_2) | instskip(NEXT) | instid1(VALU_DEP_2)
	v_mul_f32_e32 v0, s34, v0
	v_add_co_u32 v4, vcc_lo, s0, v4
	s_wait_alu 0xfffd
	s_delay_alu instid0(VALU_DEP_3)
	v_add_co_ci_u32_e64 v5, null, s1, v5, vcc_lo
	global_store_b128 v[4:5], v[0:3], off
	s_wait_alu 0xfffe
	s_or_b32 exec_lo, exec_lo, s2
	s_and_saveexec_b32 s2, s17
	s_cbranch_execz .LBB12_108
.LBB12_125:
	scratch_load_b64 v[0:1], off, off offset:120 th:TH_LOAD_LU ; 8-byte Folded Reload
	v_dual_sub_f32 v2, v26, v34 :: v_dual_sub_f32 v3, v27, v35
	v_mov_b32_e32 v5, 0
	s_wait_loadcnt 0x0
	s_wait_kmcnt 0x0
	s_delay_alu instid0(VALU_DEP_2) | instskip(SKIP_1) | instid1(VALU_DEP_2)
	v_dual_sub_f32 v1, v25, v33 :: v_dual_mul_f32 v2, s34, v2
	v_mul_f32_e32 v3, s34, v3
	v_dual_mul_f32 v1, s34, v1 :: v_dual_mov_b32 v4, v0
	v_sub_f32_e32 v0, v24, v32
	s_delay_alu instid0(VALU_DEP_2) | instskip(NEXT) | instid1(VALU_DEP_2)
	v_lshlrev_b64_e32 v[4:5], 4, v[4:5]
	v_mul_f32_e32 v0, s34, v0
	s_delay_alu instid0(VALU_DEP_2) | instskip(SKIP_1) | instid1(VALU_DEP_3)
	v_add_co_u32 v4, vcc_lo, s0, v4
	s_wait_alu 0xfffd
	v_add_co_ci_u32_e64 v5, null, s1, v5, vcc_lo
	global_store_b128 v[4:5], v[0:3], off
	s_wait_alu 0xfffe
	s_or_b32 exec_lo, exec_lo, s2
	s_and_saveexec_b32 s2, s18
	s_cbranch_execz .LBB12_109
.LBB12_126:
	scratch_load_b64 v[0:1], off, off offset:144 th:TH_LOAD_LU ; 8-byte Folded Reload
	v_dual_sub_f32 v2, v18, v22 :: v_dual_sub_f32 v3, v19, v23
	v_mov_b32_e32 v5, 0
	s_wait_loadcnt 0x0
	s_wait_kmcnt 0x0
	s_delay_alu instid0(VALU_DEP_2) | instskip(SKIP_1) | instid1(VALU_DEP_2)
	v_dual_sub_f32 v1, v17, v21 :: v_dual_mul_f32 v2, s34, v2
	v_mul_f32_e32 v3, s34, v3
	v_dual_mul_f32 v1, s34, v1 :: v_dual_mov_b32 v4, v0
	v_sub_f32_e32 v0, v16, v20
	s_delay_alu instid0(VALU_DEP_2) | instskip(NEXT) | instid1(VALU_DEP_2)
	v_lshlrev_b64_e32 v[4:5], 4, v[4:5]
	v_mul_f32_e32 v0, s34, v0
	s_delay_alu instid0(VALU_DEP_2) | instskip(SKIP_1) | instid1(VALU_DEP_3)
	v_add_co_u32 v4, vcc_lo, s0, v4
	s_wait_alu 0xfffd
	v_add_co_ci_u32_e64 v5, null, s1, v5, vcc_lo
	global_store_b128 v[4:5], v[0:3], off
	s_wait_alu 0xfffe
	s_or_b32 exec_lo, exec_lo, s2
	s_and_saveexec_b32 s2, s20
	s_cbranch_execz .LBB12_110
.LBB12_127:
	scratch_load_b64 v[0:1], off, off offset:136 th:TH_LOAD_LU ; 8-byte Folded Reload
	v_dual_sub_f32 v2, v30, v38 :: v_dual_sub_f32 v3, v31, v39
	v_mov_b32_e32 v5, 0
	s_wait_loadcnt 0x0
	s_wait_kmcnt 0x0
	s_delay_alu instid0(VALU_DEP_2) | instskip(SKIP_1) | instid1(VALU_DEP_2)
	v_dual_sub_f32 v1, v29, v37 :: v_dual_mul_f32 v2, s34, v2
	v_mul_f32_e32 v3, s34, v3
	v_dual_mul_f32 v1, s34, v1 :: v_dual_mov_b32 v4, v0
	v_sub_f32_e32 v0, v28, v36
	s_delay_alu instid0(VALU_DEP_2) | instskip(NEXT) | instid1(VALU_DEP_2)
	v_lshlrev_b64_e32 v[4:5], 4, v[4:5]
	v_mul_f32_e32 v0, s34, v0
	s_delay_alu instid0(VALU_DEP_2) | instskip(SKIP_1) | instid1(VALU_DEP_3)
	v_add_co_u32 v4, vcc_lo, s0, v4
	s_wait_alu 0xfffd
	v_add_co_ci_u32_e64 v5, null, s1, v5, vcc_lo
	global_store_b128 v[4:5], v[0:3], off
	s_wait_alu 0xfffe
	s_or_b32 exec_lo, exec_lo, s2
	s_and_saveexec_b32 s2, s21
	s_cbranch_execz .LBB12_111
.LBB12_128:
	scratch_load_b64 v[0:1], off, off th:TH_LOAD_LU ; 8-byte Folded Reload
	v_dual_sub_f32 v2, v51, v63 :: v_dual_sub_f32 v3, v52, v64
	v_mov_b32_e32 v5, 0
	s_wait_loadcnt 0x0
	v_sub_f32_e32 v1, v50, v62
	s_wait_kmcnt 0x0
	v_dual_mul_f32 v2, s34, v2 :: v_dual_mul_f32 v3, s34, v3
	s_delay_alu instid0(VALU_DEP_2) | instskip(SKIP_1) | instid1(VALU_DEP_2)
	v_dual_mul_f32 v1, s34, v1 :: v_dual_mov_b32 v4, v0
	v_sub_f32_e32 v0, v49, v61
	v_lshlrev_b64_e32 v[4:5], 4, v[4:5]
	s_delay_alu instid0(VALU_DEP_2) | instskip(NEXT) | instid1(VALU_DEP_2)
	v_mul_f32_e32 v0, s34, v0
	v_add_co_u32 v4, vcc_lo, s0, v4
	s_wait_alu 0xfffd
	s_delay_alu instid0(VALU_DEP_3)
	v_add_co_ci_u32_e64 v5, null, s1, v5, vcc_lo
	global_store_b128 v[4:5], v[0:3], off
	s_nop 0
	s_sendmsg sendmsg(MSG_DEALLOC_VGPRS)
	s_endpgm
	.section	.rodata,"a",@progbits
	.p2align	6, 0x0
	.amdhsa_kernel _Z30fast_hadamard_transform_kernelI37fast_hadamard_transform_kernel_traitsILi256ELi15EfEEv18HadamardParamsBase
		.amdhsa_group_segment_fixed_size 0
		.amdhsa_private_segment_fixed_size 284
		.amdhsa_kernarg_size 312
		.amdhsa_user_sgpr_count 2
		.amdhsa_user_sgpr_dispatch_ptr 0
		.amdhsa_user_sgpr_queue_ptr 0
		.amdhsa_user_sgpr_kernarg_segment_ptr 1
		.amdhsa_user_sgpr_dispatch_id 0
		.amdhsa_user_sgpr_private_segment_size 0
		.amdhsa_wavefront_size32 1
		.amdhsa_uses_dynamic_stack 0
		.amdhsa_enable_private_segment 1
		.amdhsa_system_sgpr_workgroup_id_x 1
		.amdhsa_system_sgpr_workgroup_id_y 0
		.amdhsa_system_sgpr_workgroup_id_z 0
		.amdhsa_system_sgpr_workgroup_info 0
		.amdhsa_system_vgpr_workitem_id 0
		.amdhsa_next_free_vgpr 256
		.amdhsa_next_free_sgpr 50
		.amdhsa_reserve_vcc 1
		.amdhsa_float_round_mode_32 0
		.amdhsa_float_round_mode_16_64 0
		.amdhsa_float_denorm_mode_32 3
		.amdhsa_float_denorm_mode_16_64 3
		.amdhsa_fp16_overflow 0
		.amdhsa_workgroup_processor_mode 1
		.amdhsa_memory_ordered 1
		.amdhsa_forward_progress 1
		.amdhsa_inst_pref_size 255
		.amdhsa_round_robin_scheduling 0
		.amdhsa_exception_fp_ieee_invalid_op 0
		.amdhsa_exception_fp_denorm_src 0
		.amdhsa_exception_fp_ieee_div_zero 0
		.amdhsa_exception_fp_ieee_overflow 0
		.amdhsa_exception_fp_ieee_underflow 0
		.amdhsa_exception_fp_ieee_inexact 0
		.amdhsa_exception_int_div_zero 0
	.end_amdhsa_kernel
	.section	.text._Z30fast_hadamard_transform_kernelI37fast_hadamard_transform_kernel_traitsILi256ELi15EfEEv18HadamardParamsBase,"axG",@progbits,_Z30fast_hadamard_transform_kernelI37fast_hadamard_transform_kernel_traitsILi256ELi15EfEEv18HadamardParamsBase,comdat
.Lfunc_end12:
	.size	_Z30fast_hadamard_transform_kernelI37fast_hadamard_transform_kernel_traitsILi256ELi15EfEEv18HadamardParamsBase, .Lfunc_end12-_Z30fast_hadamard_transform_kernelI37fast_hadamard_transform_kernel_traitsILi256ELi15EfEEv18HadamardParamsBase
                                        ; -- End function
	.set _Z30fast_hadamard_transform_kernelI37fast_hadamard_transform_kernel_traitsILi256ELi15EfEEv18HadamardParamsBase.num_vgpr, 256
	.set _Z30fast_hadamard_transform_kernelI37fast_hadamard_transform_kernel_traitsILi256ELi15EfEEv18HadamardParamsBase.num_agpr, 0
	.set _Z30fast_hadamard_transform_kernelI37fast_hadamard_transform_kernel_traitsILi256ELi15EfEEv18HadamardParamsBase.numbered_sgpr, 50
	.set _Z30fast_hadamard_transform_kernelI37fast_hadamard_transform_kernel_traitsILi256ELi15EfEEv18HadamardParamsBase.num_named_barrier, 0
	.set _Z30fast_hadamard_transform_kernelI37fast_hadamard_transform_kernel_traitsILi256ELi15EfEEv18HadamardParamsBase.private_seg_size, 284
	.set _Z30fast_hadamard_transform_kernelI37fast_hadamard_transform_kernel_traitsILi256ELi15EfEEv18HadamardParamsBase.uses_vcc, 1
	.set _Z30fast_hadamard_transform_kernelI37fast_hadamard_transform_kernel_traitsILi256ELi15EfEEv18HadamardParamsBase.uses_flat_scratch, 1
	.set _Z30fast_hadamard_transform_kernelI37fast_hadamard_transform_kernel_traitsILi256ELi15EfEEv18HadamardParamsBase.has_dyn_sized_stack, 0
	.set _Z30fast_hadamard_transform_kernelI37fast_hadamard_transform_kernel_traitsILi256ELi15EfEEv18HadamardParamsBase.has_recursion, 0
	.set _Z30fast_hadamard_transform_kernelI37fast_hadamard_transform_kernel_traitsILi256ELi15EfEEv18HadamardParamsBase.has_indirect_call, 0
	.section	.AMDGPU.csdata,"",@progbits
; Kernel info:
; codeLenInByte = 38220
; TotalNumSgprs: 52
; NumVgprs: 256
; ScratchSize: 284
; MemoryBound: 0
; FloatMode: 240
; IeeeMode: 1
; LDSByteSize: 0 bytes/workgroup (compile time only)
; SGPRBlocks: 0
; VGPRBlocks: 31
; NumSGPRsForWavesPerEU: 52
; NumVGPRsForWavesPerEU: 256
; Occupancy: 5
; WaveLimiterHint : 0
; COMPUTE_PGM_RSRC2:SCRATCH_EN: 1
; COMPUTE_PGM_RSRC2:USER_SGPR: 2
; COMPUTE_PGM_RSRC2:TRAP_HANDLER: 0
; COMPUTE_PGM_RSRC2:TGID_X_EN: 1
; COMPUTE_PGM_RSRC2:TGID_Y_EN: 0
; COMPUTE_PGM_RSRC2:TGID_Z_EN: 0
; COMPUTE_PGM_RSRC2:TIDIG_COMP_CNT: 0
	.section	.text._Z30fast_hadamard_transform_kernelI37fast_hadamard_transform_kernel_traitsILi1ELi3E6__halfEEv18HadamardParamsBase,"axG",@progbits,_Z30fast_hadamard_transform_kernelI37fast_hadamard_transform_kernel_traitsILi1ELi3E6__halfEEv18HadamardParamsBase,comdat
	.protected	_Z30fast_hadamard_transform_kernelI37fast_hadamard_transform_kernel_traitsILi1ELi3E6__halfEEv18HadamardParamsBase ; -- Begin function _Z30fast_hadamard_transform_kernelI37fast_hadamard_transform_kernel_traitsILi1ELi3E6__halfEEv18HadamardParamsBase
	.globl	_Z30fast_hadamard_transform_kernelI37fast_hadamard_transform_kernel_traitsILi1ELi3E6__halfEEv18HadamardParamsBase
	.p2align	8
	.type	_Z30fast_hadamard_transform_kernelI37fast_hadamard_transform_kernel_traitsILi1ELi3E6__halfEEv18HadamardParamsBase,@function
_Z30fast_hadamard_transform_kernelI37fast_hadamard_transform_kernel_traitsILi1ELi3E6__halfEEv18HadamardParamsBase: ; @_Z30fast_hadamard_transform_kernelI37fast_hadamard_transform_kernel_traitsILi1ELi3E6__halfEEv18HadamardParamsBase
; %bb.0:
	s_load_b32 s2, s[0:1], 0x4
	s_wait_kmcnt 0x0
	s_cmp_eq_u32 s2, 0
	s_cbranch_scc1 .LBB13_2
; %bb.1:
	s_clause 0x1
	s_load_b128 s[8:11], s[0:1], 0x10
	s_load_b128 s[4:7], s[0:1], 0x28
	s_mov_b32 s12, ttmp9
	s_ashr_i32 s13, ttmp9, 31
	s_load_b32 s14, s[0:1], 0x20
	v_mov_b32_e32 v4, 0
	s_wait_kmcnt 0x0
	s_mul_u64 s[0:1], s[8:9], s[12:13]
	s_delay_alu instid0(SALU_CYCLE_1) | instskip(NEXT) | instid1(SALU_CYCLE_1)
	s_lshl_b64 s[0:1], s[0:1], 1
	s_add_nc_u64 s[0:1], s[4:5], s[0:1]
	s_mul_u64 s[4:5], s[10:11], s[12:13]
	s_load_b128 s[0:3], s[0:1], 0x0
	s_wait_kmcnt 0x0
	s_cvt_f32_f16 s8, s0
	s_cvt_hi_f32_f16 s0, s0
	s_cvt_f32_f16 s9, s1
	s_cvt_hi_f32_f16 s1, s1
	;; [unrolled: 2-line block ×4, first 2 shown]
	s_sub_f32 s12, s8, s0
	s_sub_f32 s13, s9, s1
	;; [unrolled: 1-line block ×4, first 2 shown]
	s_add_f32 s0, s8, s0
	s_add_f32 s1, s9, s1
	;; [unrolled: 1-line block ×4, first 2 shown]
	s_sub_f32 s8, s12, s13
	s_sub_f32 s9, s15, s16
	;; [unrolled: 1-line block ×4, first 2 shown]
	s_add_f32 s0, s0, s1
	s_add_f32 s1, s2, s3
	s_sub_f32 s2, s8, s9
	s_add_f32 s3, s8, s9
	s_sub_f32 s8, s10, s11
	;; [unrolled: 2-line block ×3, first 2 shown]
	s_add_f32 s0, s0, s1
	s_add_f32 s12, s12, s13
	;; [unrolled: 1-line block ×3, first 2 shown]
	v_fma_mixlo_f16 v3, s14, s8, 0
	v_fma_mixlo_f16 v2, s14, s10, 0
	;; [unrolled: 1-line block ×4, first 2 shown]
	s_sub_f32 s11, s12, s13
	s_add_f32 s0, s12, s13
	v_fma_mixhi_f16 v3, s14, s2, 0
	v_fma_mixhi_f16 v1, s14, s3, 0
	s_wait_alu 0xfffe
	v_fma_mixhi_f16 v2, s14, s11, 0
	v_fma_mixhi_f16 v0, s14, s0, 0
	s_lshl_b64 s[0:1], s[4:5], 1
	s_wait_alu 0xfffe
	s_add_nc_u64 s[0:1], s[6:7], s[0:1]
	global_store_b128 v4, v[0:3], s[0:1]
.LBB13_2:
	s_endpgm
	.section	.rodata,"a",@progbits
	.p2align	6, 0x0
	.amdhsa_kernel _Z30fast_hadamard_transform_kernelI37fast_hadamard_transform_kernel_traitsILi1ELi3E6__halfEEv18HadamardParamsBase
		.amdhsa_group_segment_fixed_size 0
		.amdhsa_private_segment_fixed_size 0
		.amdhsa_kernarg_size 56
		.amdhsa_user_sgpr_count 2
		.amdhsa_user_sgpr_dispatch_ptr 0
		.amdhsa_user_sgpr_queue_ptr 0
		.amdhsa_user_sgpr_kernarg_segment_ptr 1
		.amdhsa_user_sgpr_dispatch_id 0
		.amdhsa_user_sgpr_private_segment_size 0
		.amdhsa_wavefront_size32 1
		.amdhsa_uses_dynamic_stack 0
		.amdhsa_enable_private_segment 0
		.amdhsa_system_sgpr_workgroup_id_x 1
		.amdhsa_system_sgpr_workgroup_id_y 0
		.amdhsa_system_sgpr_workgroup_id_z 0
		.amdhsa_system_sgpr_workgroup_info 0
		.amdhsa_system_vgpr_workitem_id 0
		.amdhsa_next_free_vgpr 5
		.amdhsa_next_free_sgpr 17
		.amdhsa_reserve_vcc 0
		.amdhsa_float_round_mode_32 0
		.amdhsa_float_round_mode_16_64 0
		.amdhsa_float_denorm_mode_32 3
		.amdhsa_float_denorm_mode_16_64 3
		.amdhsa_fp16_overflow 0
		.amdhsa_workgroup_processor_mode 1
		.amdhsa_memory_ordered 1
		.amdhsa_forward_progress 1
		.amdhsa_inst_pref_size 3
		.amdhsa_round_robin_scheduling 0
		.amdhsa_exception_fp_ieee_invalid_op 0
		.amdhsa_exception_fp_denorm_src 0
		.amdhsa_exception_fp_ieee_div_zero 0
		.amdhsa_exception_fp_ieee_overflow 0
		.amdhsa_exception_fp_ieee_underflow 0
		.amdhsa_exception_fp_ieee_inexact 0
		.amdhsa_exception_int_div_zero 0
	.end_amdhsa_kernel
	.section	.text._Z30fast_hadamard_transform_kernelI37fast_hadamard_transform_kernel_traitsILi1ELi3E6__halfEEv18HadamardParamsBase,"axG",@progbits,_Z30fast_hadamard_transform_kernelI37fast_hadamard_transform_kernel_traitsILi1ELi3E6__halfEEv18HadamardParamsBase,comdat
.Lfunc_end13:
	.size	_Z30fast_hadamard_transform_kernelI37fast_hadamard_transform_kernel_traitsILi1ELi3E6__halfEEv18HadamardParamsBase, .Lfunc_end13-_Z30fast_hadamard_transform_kernelI37fast_hadamard_transform_kernel_traitsILi1ELi3E6__halfEEv18HadamardParamsBase
                                        ; -- End function
	.set _Z30fast_hadamard_transform_kernelI37fast_hadamard_transform_kernel_traitsILi1ELi3E6__halfEEv18HadamardParamsBase.num_vgpr, 5
	.set _Z30fast_hadamard_transform_kernelI37fast_hadamard_transform_kernel_traitsILi1ELi3E6__halfEEv18HadamardParamsBase.num_agpr, 0
	.set _Z30fast_hadamard_transform_kernelI37fast_hadamard_transform_kernel_traitsILi1ELi3E6__halfEEv18HadamardParamsBase.numbered_sgpr, 17
	.set _Z30fast_hadamard_transform_kernelI37fast_hadamard_transform_kernel_traitsILi1ELi3E6__halfEEv18HadamardParamsBase.num_named_barrier, 0
	.set _Z30fast_hadamard_transform_kernelI37fast_hadamard_transform_kernel_traitsILi1ELi3E6__halfEEv18HadamardParamsBase.private_seg_size, 0
	.set _Z30fast_hadamard_transform_kernelI37fast_hadamard_transform_kernel_traitsILi1ELi3E6__halfEEv18HadamardParamsBase.uses_vcc, 0
	.set _Z30fast_hadamard_transform_kernelI37fast_hadamard_transform_kernel_traitsILi1ELi3E6__halfEEv18HadamardParamsBase.uses_flat_scratch, 0
	.set _Z30fast_hadamard_transform_kernelI37fast_hadamard_transform_kernel_traitsILi1ELi3E6__halfEEv18HadamardParamsBase.has_dyn_sized_stack, 0
	.set _Z30fast_hadamard_transform_kernelI37fast_hadamard_transform_kernel_traitsILi1ELi3E6__halfEEv18HadamardParamsBase.has_recursion, 0
	.set _Z30fast_hadamard_transform_kernelI37fast_hadamard_transform_kernel_traitsILi1ELi3E6__halfEEv18HadamardParamsBase.has_indirect_call, 0
	.section	.AMDGPU.csdata,"",@progbits
; Kernel info:
; codeLenInByte = 320
; TotalNumSgprs: 17
; NumVgprs: 5
; ScratchSize: 0
; MemoryBound: 0
; FloatMode: 240
; IeeeMode: 1
; LDSByteSize: 0 bytes/workgroup (compile time only)
; SGPRBlocks: 0
; VGPRBlocks: 0
; NumSGPRsForWavesPerEU: 17
; NumVGPRsForWavesPerEU: 5
; Occupancy: 16
; WaveLimiterHint : 0
; COMPUTE_PGM_RSRC2:SCRATCH_EN: 0
; COMPUTE_PGM_RSRC2:USER_SGPR: 2
; COMPUTE_PGM_RSRC2:TRAP_HANDLER: 0
; COMPUTE_PGM_RSRC2:TGID_X_EN: 1
; COMPUTE_PGM_RSRC2:TGID_Y_EN: 0
; COMPUTE_PGM_RSRC2:TGID_Z_EN: 0
; COMPUTE_PGM_RSRC2:TIDIG_COMP_CNT: 0
	.section	.text._Z30fast_hadamard_transform_kernelI37fast_hadamard_transform_kernel_traitsILi2ELi4E6__halfEEv18HadamardParamsBase,"axG",@progbits,_Z30fast_hadamard_transform_kernelI37fast_hadamard_transform_kernel_traitsILi2ELi4E6__halfEEv18HadamardParamsBase,comdat
	.protected	_Z30fast_hadamard_transform_kernelI37fast_hadamard_transform_kernel_traitsILi2ELi4E6__halfEEv18HadamardParamsBase ; -- Begin function _Z30fast_hadamard_transform_kernelI37fast_hadamard_transform_kernel_traitsILi2ELi4E6__halfEEv18HadamardParamsBase
	.globl	_Z30fast_hadamard_transform_kernelI37fast_hadamard_transform_kernel_traitsILi2ELi4E6__halfEEv18HadamardParamsBase
	.p2align	8
	.type	_Z30fast_hadamard_transform_kernelI37fast_hadamard_transform_kernel_traitsILi2ELi4E6__halfEEv18HadamardParamsBase,@function
_Z30fast_hadamard_transform_kernelI37fast_hadamard_transform_kernel_traitsILi2ELi4E6__halfEEv18HadamardParamsBase: ; @_Z30fast_hadamard_transform_kernelI37fast_hadamard_transform_kernel_traitsILi2ELi4E6__halfEEv18HadamardParamsBase
; %bb.0:
	s_load_b32 s2, s[0:1], 0x4
	v_dual_mov_b32 v6, 0 :: v_dual_lshlrev_b32 v7, 3, v0
	v_dual_mov_b32 v3, 0 :: v_dual_mov_b32 v2, 0
	v_dual_mov_b32 v4, 0 :: v_dual_mov_b32 v5, 0
	;; [unrolled: 1-line block ×3, first 2 shown]
	v_lshlrev_b32_e32 v1, 4, v0
	s_mov_b32 s4, ttmp9
	s_ashr_i32 s5, ttmp9, 31
	s_wait_kmcnt 0x0
	v_cmp_gt_u32_e32 vcc_lo, s2, v7
	v_mov_b32_e32 v7, 0
	s_and_saveexec_b32 s2, vcc_lo
	s_cbranch_execz .LBB14_2
; %bb.1:
	s_clause 0x1
	s_load_b64 s[6:7], s[0:1], 0x10
	s_load_b64 s[8:9], s[0:1], 0x28
	s_wait_kmcnt 0x0
	s_mul_u64 s[6:7], s[6:7], s[4:5]
	s_delay_alu instid0(SALU_CYCLE_1) | instskip(NEXT) | instid1(SALU_CYCLE_1)
	s_lshl_b64 s[6:7], s[6:7], 1
	s_add_nc_u64 s[6:7], s[8:9], s[6:7]
	global_load_b128 v[7:10], v1, s[6:7]
	s_wait_loadcnt 0x0
	v_lshrrev_b32_e32 v3, 16, v7
	v_lshrrev_b32_e32 v6, 16, v8
	;; [unrolled: 1-line block ×4, first 2 shown]
	v_cvt_f32_f16_e32 v7, v7
	v_cvt_f32_f16_e32 v5, v8
	;; [unrolled: 1-line block ×8, first 2 shown]
.LBB14_2:
	s_wait_alu 0xfffe
	s_or_b32 exec_lo, exec_lo, s2
	v_dual_add_f32 v10, v9, v7 :: v_dual_sub_f32 v7, v7, v9
	v_add_f32_e32 v9, v8, v5
	v_sub_f32_e32 v5, v5, v8
	v_add_f32_e32 v8, v6, v4
	v_sub_f32_e32 v4, v4, v6
	v_add_f32_e32 v6, v3, v2
	v_dual_sub_f32 v2, v2, v3 :: v_dual_add_f32 v11, v9, v10
	v_mbcnt_lo_u32_b32 v3, -1, 0
	v_dual_sub_f32 v10, v10, v9 :: v_dual_add_f32 v9, v5, v7
	s_delay_alu instid0(VALU_DEP_4) | instskip(NEXT) | instid1(VALU_DEP_3)
	v_dual_sub_f32 v7, v7, v5 :: v_dual_add_f32 v12, v6, v8
	v_xor_b32_e32 v5, 1, v3
	v_dual_sub_f32 v6, v8, v6 :: v_dual_add_f32 v13, v2, v4
	v_sub_f32_e32 v4, v4, v2
	s_delay_alu instid0(VALU_DEP_3) | instskip(SKIP_1) | instid1(VALU_DEP_1)
	v_cmp_gt_i32_e64 s2, 32, v5
	s_wait_alu 0xf1ff
	v_cndmask_b32_e64 v3, v3, v5, s2
	s_delay_alu instid0(VALU_DEP_3) | instskip(NEXT) | instid1(VALU_DEP_2)
	v_dual_add_f32 v5, v13, v9 :: v_dual_sub_f32 v16, v7, v4
	v_lshlrev_b32_e32 v17, 2, v3
	v_add_f32_e32 v2, v12, v11
	v_dual_sub_f32 v8, v11, v12 :: v_dual_sub_f32 v15, v10, v6
	v_dual_sub_f32 v12, v9, v13 :: v_dual_add_f32 v13, v4, v7
	v_add_f32_e32 v9, v6, v10
	ds_bpermute_b32 v3, v17, v2
	ds_bpermute_b32 v4, v17, v5
	;; [unrolled: 1-line block ×8, first 2 shown]
	s_and_saveexec_b32 s2, vcc_lo
	s_cbranch_execz .LBB14_4
; %bb.3:
	s_clause 0x1
	s_load_b96 s[8:10], s[0:1], 0x18
	s_load_b64 s[0:1], s[0:1], 0x30
	v_cmp_eq_u32_e32 vcc_lo, 0, v0
	v_cndmask_b32_e64 v15, -v15, v15, vcc_lo
	v_cndmask_b32_e64 v8, -v8, v8, vcc_lo
	;; [unrolled: 1-line block ×8, first 2 shown]
	s_wait_dscnt 0x1
	v_add_f32_e32 v14, v15, v14
	v_add_f32_e32 v8, v8, v10
	;; [unrolled: 1-line block ×4, first 2 shown]
	s_wait_dscnt 0x0
	v_dual_add_f32 v0, v0, v17 :: v_dual_add_f32 v7, v13, v7
	v_add_f32_e32 v11, v12, v11
	v_add_f32_e32 v9, v5, v4
	s_wait_kmcnt 0x0
	v_fma_mixlo_f16 v5, s10, v14, 0
	v_fma_mixlo_f16 v4, s10, v8, 0
	;; [unrolled: 1-line block ×4, first 2 shown]
	s_mul_u64 s[2:3], s[8:9], s[4:5]
	v_fma_mixhi_f16 v5, s10, v0, 0
	v_fma_mixhi_f16 v4, s10, v11, 0
	;; [unrolled: 1-line block ×4, first 2 shown]
	s_wait_alu 0xfffe
	s_lshl_b64 s[2:3], s[2:3], 1
	s_wait_alu 0xfffe
	s_add_nc_u64 s[0:1], s[0:1], s[2:3]
	global_store_b128 v1, v[2:5], s[0:1]
.LBB14_4:
	s_endpgm
	.section	.rodata,"a",@progbits
	.p2align	6, 0x0
	.amdhsa_kernel _Z30fast_hadamard_transform_kernelI37fast_hadamard_transform_kernel_traitsILi2ELi4E6__halfEEv18HadamardParamsBase
		.amdhsa_group_segment_fixed_size 0
		.amdhsa_private_segment_fixed_size 0
		.amdhsa_kernarg_size 56
		.amdhsa_user_sgpr_count 2
		.amdhsa_user_sgpr_dispatch_ptr 0
		.amdhsa_user_sgpr_queue_ptr 0
		.amdhsa_user_sgpr_kernarg_segment_ptr 1
		.amdhsa_user_sgpr_dispatch_id 0
		.amdhsa_user_sgpr_private_segment_size 0
		.amdhsa_wavefront_size32 1
		.amdhsa_uses_dynamic_stack 0
		.amdhsa_enable_private_segment 0
		.amdhsa_system_sgpr_workgroup_id_x 1
		.amdhsa_system_sgpr_workgroup_id_y 0
		.amdhsa_system_sgpr_workgroup_id_z 0
		.amdhsa_system_sgpr_workgroup_info 0
		.amdhsa_system_vgpr_workitem_id 0
		.amdhsa_next_free_vgpr 18
		.amdhsa_next_free_sgpr 11
		.amdhsa_reserve_vcc 1
		.amdhsa_float_round_mode_32 0
		.amdhsa_float_round_mode_16_64 0
		.amdhsa_float_denorm_mode_32 3
		.amdhsa_float_denorm_mode_16_64 3
		.amdhsa_fp16_overflow 0
		.amdhsa_workgroup_processor_mode 1
		.amdhsa_memory_ordered 1
		.amdhsa_forward_progress 1
		.amdhsa_inst_pref_size 5
		.amdhsa_round_robin_scheduling 0
		.amdhsa_exception_fp_ieee_invalid_op 0
		.amdhsa_exception_fp_denorm_src 0
		.amdhsa_exception_fp_ieee_div_zero 0
		.amdhsa_exception_fp_ieee_overflow 0
		.amdhsa_exception_fp_ieee_underflow 0
		.amdhsa_exception_fp_ieee_inexact 0
		.amdhsa_exception_int_div_zero 0
	.end_amdhsa_kernel
	.section	.text._Z30fast_hadamard_transform_kernelI37fast_hadamard_transform_kernel_traitsILi2ELi4E6__halfEEv18HadamardParamsBase,"axG",@progbits,_Z30fast_hadamard_transform_kernelI37fast_hadamard_transform_kernel_traitsILi2ELi4E6__halfEEv18HadamardParamsBase,comdat
.Lfunc_end14:
	.size	_Z30fast_hadamard_transform_kernelI37fast_hadamard_transform_kernel_traitsILi2ELi4E6__halfEEv18HadamardParamsBase, .Lfunc_end14-_Z30fast_hadamard_transform_kernelI37fast_hadamard_transform_kernel_traitsILi2ELi4E6__halfEEv18HadamardParamsBase
                                        ; -- End function
	.set _Z30fast_hadamard_transform_kernelI37fast_hadamard_transform_kernel_traitsILi2ELi4E6__halfEEv18HadamardParamsBase.num_vgpr, 18
	.set _Z30fast_hadamard_transform_kernelI37fast_hadamard_transform_kernel_traitsILi2ELi4E6__halfEEv18HadamardParamsBase.num_agpr, 0
	.set _Z30fast_hadamard_transform_kernelI37fast_hadamard_transform_kernel_traitsILi2ELi4E6__halfEEv18HadamardParamsBase.numbered_sgpr, 11
	.set _Z30fast_hadamard_transform_kernelI37fast_hadamard_transform_kernel_traitsILi2ELi4E6__halfEEv18HadamardParamsBase.num_named_barrier, 0
	.set _Z30fast_hadamard_transform_kernelI37fast_hadamard_transform_kernel_traitsILi2ELi4E6__halfEEv18HadamardParamsBase.private_seg_size, 0
	.set _Z30fast_hadamard_transform_kernelI37fast_hadamard_transform_kernel_traitsILi2ELi4E6__halfEEv18HadamardParamsBase.uses_vcc, 1
	.set _Z30fast_hadamard_transform_kernelI37fast_hadamard_transform_kernel_traitsILi2ELi4E6__halfEEv18HadamardParamsBase.uses_flat_scratch, 0
	.set _Z30fast_hadamard_transform_kernelI37fast_hadamard_transform_kernel_traitsILi2ELi4E6__halfEEv18HadamardParamsBase.has_dyn_sized_stack, 0
	.set _Z30fast_hadamard_transform_kernelI37fast_hadamard_transform_kernel_traitsILi2ELi4E6__halfEEv18HadamardParamsBase.has_recursion, 0
	.set _Z30fast_hadamard_transform_kernelI37fast_hadamard_transform_kernel_traitsILi2ELi4E6__halfEEv18HadamardParamsBase.has_indirect_call, 0
	.section	.AMDGPU.csdata,"",@progbits
; Kernel info:
; codeLenInByte = 632
; TotalNumSgprs: 13
; NumVgprs: 18
; ScratchSize: 0
; MemoryBound: 0
; FloatMode: 240
; IeeeMode: 1
; LDSByteSize: 0 bytes/workgroup (compile time only)
; SGPRBlocks: 0
; VGPRBlocks: 2
; NumSGPRsForWavesPerEU: 13
; NumVGPRsForWavesPerEU: 18
; Occupancy: 16
; WaveLimiterHint : 0
; COMPUTE_PGM_RSRC2:SCRATCH_EN: 0
; COMPUTE_PGM_RSRC2:USER_SGPR: 2
; COMPUTE_PGM_RSRC2:TRAP_HANDLER: 0
; COMPUTE_PGM_RSRC2:TGID_X_EN: 1
; COMPUTE_PGM_RSRC2:TGID_Y_EN: 0
; COMPUTE_PGM_RSRC2:TGID_Z_EN: 0
; COMPUTE_PGM_RSRC2:TIDIG_COMP_CNT: 0
	.section	.text._Z30fast_hadamard_transform_kernelI37fast_hadamard_transform_kernel_traitsILi4ELi5E6__halfEEv18HadamardParamsBase,"axG",@progbits,_Z30fast_hadamard_transform_kernelI37fast_hadamard_transform_kernel_traitsILi4ELi5E6__halfEEv18HadamardParamsBase,comdat
	.protected	_Z30fast_hadamard_transform_kernelI37fast_hadamard_transform_kernel_traitsILi4ELi5E6__halfEEv18HadamardParamsBase ; -- Begin function _Z30fast_hadamard_transform_kernelI37fast_hadamard_transform_kernel_traitsILi4ELi5E6__halfEEv18HadamardParamsBase
	.globl	_Z30fast_hadamard_transform_kernelI37fast_hadamard_transform_kernel_traitsILi4ELi5E6__halfEEv18HadamardParamsBase
	.p2align	8
	.type	_Z30fast_hadamard_transform_kernelI37fast_hadamard_transform_kernel_traitsILi4ELi5E6__halfEEv18HadamardParamsBase,@function
_Z30fast_hadamard_transform_kernelI37fast_hadamard_transform_kernel_traitsILi4ELi5E6__halfEEv18HadamardParamsBase: ; @_Z30fast_hadamard_transform_kernelI37fast_hadamard_transform_kernel_traitsILi4ELi5E6__halfEEv18HadamardParamsBase
; %bb.0:
	s_load_b32 s2, s[0:1], 0x4
	v_dual_mov_b32 v8, 0 :: v_dual_lshlrev_b32 v7, 3, v0
	v_dual_mov_b32 v3, 0 :: v_dual_mov_b32 v2, 0
	v_dual_mov_b32 v5, 0 :: v_dual_mov_b32 v4, 0
	;; [unrolled: 1-line block ×3, first 2 shown]
	v_lshlrev_b32_e32 v1, 4, v0
	s_mov_b32 s4, ttmp9
	s_ashr_i32 s5, ttmp9, 31
	s_wait_kmcnt 0x0
	v_cmp_gt_u32_e32 vcc_lo, s2, v7
	v_mov_b32_e32 v7, 0
	s_and_saveexec_b32 s2, vcc_lo
	s_cbranch_execz .LBB15_2
; %bb.1:
	s_clause 0x1
	s_load_b64 s[6:7], s[0:1], 0x10
	s_load_b64 s[8:9], s[0:1], 0x28
	s_wait_kmcnt 0x0
	s_mul_u64 s[6:7], s[6:7], s[4:5]
	s_delay_alu instid0(SALU_CYCLE_1) | instskip(NEXT) | instid1(SALU_CYCLE_1)
	s_lshl_b64 s[6:7], s[6:7], 1
	s_add_nc_u64 s[6:7], s[8:9], s[6:7]
	global_load_b128 v[2:5], v1, s[6:7]
	s_wait_loadcnt 0x0
	v_lshrrev_b32_e32 v8, 16, v2
	v_lshrrev_b32_e32 v10, 16, v3
	;; [unrolled: 1-line block ×4, first 2 shown]
	v_cvt_f32_f16_e32 v7, v2
	v_cvt_f32_f16_e32 v6, v3
	;; [unrolled: 1-line block ×8, first 2 shown]
.LBB15_2:
	s_wait_alu 0xfffe
	s_or_b32 exec_lo, exec_lo, s2
	v_mbcnt_lo_u32_b32 v11, -1, 0
	v_dual_add_f32 v10, v9, v7 :: v_dual_sub_f32 v7, v7, v9
	v_dual_add_f32 v9, v8, v6 :: v_dual_sub_f32 v6, v6, v8
	s_delay_alu instid0(VALU_DEP_3) | instskip(SKIP_3) | instid1(VALU_DEP_4)
	v_xor_b32_e32 v12, 1, v11
	v_add_f32_e32 v8, v5, v4
	v_dual_sub_f32 v4, v4, v5 :: v_dual_add_f32 v5, v3, v2
	v_sub_f32_e32 v2, v2, v3
	v_cmp_gt_i32_e64 s2, 32, v12
	v_add_f32_e32 v3, v9, v10
	v_sub_f32_e32 v9, v10, v9
	v_add_f32_e32 v10, v6, v7
	v_dual_sub_f32 v6, v7, v6 :: v_dual_add_f32 v7, v5, v8
	s_wait_alu 0xf1ff
	v_cndmask_b32_e64 v12, v11, v12, s2
	v_dual_add_f32 v13, v2, v4 :: v_dual_sub_f32 v2, v4, v2
	v_dual_sub_f32 v5, v8, v5 :: v_dual_and_b32 v20, 1, v0
	s_delay_alu instid0(VALU_DEP_3) | instskip(NEXT) | instid1(VALU_DEP_3)
	v_lshlrev_b32_e32 v8, 2, v12
	v_add_f32_e32 v12, v13, v10
	s_delay_alu instid0(VALU_DEP_4) | instskip(NEXT) | instid1(VALU_DEP_4)
	v_dual_add_f32 v4, v7, v3 :: v_dual_add_f32 v15, v2, v6
	v_cmp_eq_u32_e64 s2, 0, v20
	v_sub_f32_e32 v7, v3, v7
	ds_bpermute_b32 v17, v8, v12
	ds_bpermute_b32 v16, v8, v4
	;; [unrolled: 1-line block ×3, first 2 shown]
	s_wait_alu 0xf1ff
	v_cndmask_b32_e64 v3, -v12, v12, s2
	v_xor_b32_e32 v12, 2, v11
	s_delay_alu instid0(VALU_DEP_1) | instskip(SKIP_1) | instid1(VALU_DEP_1)
	v_cmp_gt_i32_e64 s3, 32, v12
	s_wait_alu 0xf1ff
	v_cndmask_b32_e64 v11, v11, v12, s3
	v_add_f32_e32 v14, v5, v9
	v_sub_f32_e32 v9, v9, v5
	v_cndmask_b32_e64 v5, -v15, v15, s2
	v_sub_f32_e32 v10, v10, v13
	ds_bpermute_b32 v13, v8, v7
	s_wait_dscnt 0x3
	v_add_f32_e32 v3, v3, v17
	ds_bpermute_b32 v21, v8, v9
	v_cndmask_b32_e64 v9, -v9, v9, s2
	s_wait_dscnt 0x2
	v_dual_sub_f32 v6, v6, v2 :: v_dual_add_f32 v5, v5, v19
	ds_bpermute_b32 v20, v8, v10
	v_lshlrev_b32_e32 v17, 2, v11
	ds_bpermute_b32 v18, v8, v14
	v_cndmask_b32_e64 v2, -v4, v4, s2
	v_cndmask_b32_e64 v4, -v14, v14, s2
	v_cndmask_b32_e64 v7, -v7, v7, s2
	v_cndmask_b32_e64 v10, -v10, v10, s2
	s_delay_alu instid0(VALU_DEP_4) | instskip(SKIP_1) | instid1(VALU_DEP_3)
	v_add_f32_e32 v2, v2, v16
	s_wait_dscnt 0x3
	v_add_f32_e32 v12, v7, v13
	ds_bpermute_b32 v7, v17, v3
	s_wait_dscnt 0x3
	v_add_f32_e32 v15, v9, v21
	ds_bpermute_b32 v8, v8, v6
	v_cndmask_b32_e64 v6, -v6, v6, s2
	ds_bpermute_b32 v9, v17, v5
	s_wait_dscnt 0x4
	v_add_f32_e32 v14, v10, v20
	ds_bpermute_b32 v10, v17, v12
	s_wait_dscnt 0x4
	v_add_f32_e32 v4, v4, v18
	ds_bpermute_b32 v13, v17, v15
	ds_bpermute_b32 v11, v17, v14
	s_wait_dscnt 0x4
	v_add_f32_e32 v16, v6, v8
	ds_bpermute_b32 v6, v17, v2
	ds_bpermute_b32 v8, v17, v4
	;; [unrolled: 1-line block ×3, first 2 shown]
	s_and_saveexec_b32 s2, vcc_lo
	s_cbranch_execz .LBB15_4
; %bb.3:
	v_and_b32_e32 v0, 2, v0
	s_clause 0x1
	s_load_b96 s[8:10], s[0:1], 0x18
	s_load_b64 s[0:1], s[0:1], 0x30
	s_delay_alu instid0(VALU_DEP_1)
	v_cmp_eq_u32_e32 vcc_lo, 0, v0
	v_cndmask_b32_e64 v15, -v15, v15, vcc_lo
	v_cndmask_b32_e64 v12, -v12, v12, vcc_lo
	;; [unrolled: 1-line block ×8, first 2 shown]
	s_wait_dscnt 0x4
	v_dual_add_f32 v13, v15, v13 :: v_dual_add_f32 v10, v12, v10
	s_wait_dscnt 0x1
	v_add_f32_e32 v8, v4, v8
	v_add_f32_e32 v2, v2, v6
	s_wait_dscnt 0x0
	v_dual_add_f32 v0, v0, v17 :: v_dual_add_f32 v11, v14, v11
	v_dual_add_f32 v9, v5, v9 :: v_dual_add_f32 v6, v3, v7
	s_wait_kmcnt 0x0
	v_fma_mixlo_f16 v5, s10, v13, 0
	v_fma_mixlo_f16 v4, s10, v10, 0
	;; [unrolled: 1-line block ×4, first 2 shown]
	s_mul_u64 s[2:3], s[8:9], s[4:5]
	v_fma_mixhi_f16 v5, s10, v0, 0
	v_fma_mixhi_f16 v4, s10, v11, 0
	;; [unrolled: 1-line block ×4, first 2 shown]
	s_wait_alu 0xfffe
	s_lshl_b64 s[2:3], s[2:3], 1
	s_wait_alu 0xfffe
	s_add_nc_u64 s[0:1], s[0:1], s[2:3]
	global_store_b128 v1, v[2:5], s[0:1]
.LBB15_4:
	s_endpgm
	.section	.rodata,"a",@progbits
	.p2align	6, 0x0
	.amdhsa_kernel _Z30fast_hadamard_transform_kernelI37fast_hadamard_transform_kernel_traitsILi4ELi5E6__halfEEv18HadamardParamsBase
		.amdhsa_group_segment_fixed_size 0
		.amdhsa_private_segment_fixed_size 0
		.amdhsa_kernarg_size 56
		.amdhsa_user_sgpr_count 2
		.amdhsa_user_sgpr_dispatch_ptr 0
		.amdhsa_user_sgpr_queue_ptr 0
		.amdhsa_user_sgpr_kernarg_segment_ptr 1
		.amdhsa_user_sgpr_dispatch_id 0
		.amdhsa_user_sgpr_private_segment_size 0
		.amdhsa_wavefront_size32 1
		.amdhsa_uses_dynamic_stack 0
		.amdhsa_enable_private_segment 0
		.amdhsa_system_sgpr_workgroup_id_x 1
		.amdhsa_system_sgpr_workgroup_id_y 0
		.amdhsa_system_sgpr_workgroup_id_z 0
		.amdhsa_system_sgpr_workgroup_info 0
		.amdhsa_system_vgpr_workitem_id 0
		.amdhsa_next_free_vgpr 22
		.amdhsa_next_free_sgpr 11
		.amdhsa_reserve_vcc 1
		.amdhsa_float_round_mode_32 0
		.amdhsa_float_round_mode_16_64 0
		.amdhsa_float_denorm_mode_32 3
		.amdhsa_float_denorm_mode_16_64 3
		.amdhsa_fp16_overflow 0
		.amdhsa_workgroup_processor_mode 1
		.amdhsa_memory_ordered 1
		.amdhsa_forward_progress 1
		.amdhsa_inst_pref_size 7
		.amdhsa_round_robin_scheduling 0
		.amdhsa_exception_fp_ieee_invalid_op 0
		.amdhsa_exception_fp_denorm_src 0
		.amdhsa_exception_fp_ieee_div_zero 0
		.amdhsa_exception_fp_ieee_overflow 0
		.amdhsa_exception_fp_ieee_underflow 0
		.amdhsa_exception_fp_ieee_inexact 0
		.amdhsa_exception_int_div_zero 0
	.end_amdhsa_kernel
	.section	.text._Z30fast_hadamard_transform_kernelI37fast_hadamard_transform_kernel_traitsILi4ELi5E6__halfEEv18HadamardParamsBase,"axG",@progbits,_Z30fast_hadamard_transform_kernelI37fast_hadamard_transform_kernel_traitsILi4ELi5E6__halfEEv18HadamardParamsBase,comdat
.Lfunc_end15:
	.size	_Z30fast_hadamard_transform_kernelI37fast_hadamard_transform_kernel_traitsILi4ELi5E6__halfEEv18HadamardParamsBase, .Lfunc_end15-_Z30fast_hadamard_transform_kernelI37fast_hadamard_transform_kernel_traitsILi4ELi5E6__halfEEv18HadamardParamsBase
                                        ; -- End function
	.set _Z30fast_hadamard_transform_kernelI37fast_hadamard_transform_kernel_traitsILi4ELi5E6__halfEEv18HadamardParamsBase.num_vgpr, 22
	.set _Z30fast_hadamard_transform_kernelI37fast_hadamard_transform_kernel_traitsILi4ELi5E6__halfEEv18HadamardParamsBase.num_agpr, 0
	.set _Z30fast_hadamard_transform_kernelI37fast_hadamard_transform_kernel_traitsILi4ELi5E6__halfEEv18HadamardParamsBase.numbered_sgpr, 11
	.set _Z30fast_hadamard_transform_kernelI37fast_hadamard_transform_kernel_traitsILi4ELi5E6__halfEEv18HadamardParamsBase.num_named_barrier, 0
	.set _Z30fast_hadamard_transform_kernelI37fast_hadamard_transform_kernel_traitsILi4ELi5E6__halfEEv18HadamardParamsBase.private_seg_size, 0
	.set _Z30fast_hadamard_transform_kernelI37fast_hadamard_transform_kernel_traitsILi4ELi5E6__halfEEv18HadamardParamsBase.uses_vcc, 1
	.set _Z30fast_hadamard_transform_kernelI37fast_hadamard_transform_kernel_traitsILi4ELi5E6__halfEEv18HadamardParamsBase.uses_flat_scratch, 0
	.set _Z30fast_hadamard_transform_kernelI37fast_hadamard_transform_kernel_traitsILi4ELi5E6__halfEEv18HadamardParamsBase.has_dyn_sized_stack, 0
	.set _Z30fast_hadamard_transform_kernelI37fast_hadamard_transform_kernel_traitsILi4ELi5E6__halfEEv18HadamardParamsBase.has_recursion, 0
	.set _Z30fast_hadamard_transform_kernelI37fast_hadamard_transform_kernel_traitsILi4ELi5E6__halfEEv18HadamardParamsBase.has_indirect_call, 0
	.section	.AMDGPU.csdata,"",@progbits
; Kernel info:
; codeLenInByte = 884
; TotalNumSgprs: 13
; NumVgprs: 22
; ScratchSize: 0
; MemoryBound: 0
; FloatMode: 240
; IeeeMode: 1
; LDSByteSize: 0 bytes/workgroup (compile time only)
; SGPRBlocks: 0
; VGPRBlocks: 2
; NumSGPRsForWavesPerEU: 13
; NumVGPRsForWavesPerEU: 22
; Occupancy: 16
; WaveLimiterHint : 0
; COMPUTE_PGM_RSRC2:SCRATCH_EN: 0
; COMPUTE_PGM_RSRC2:USER_SGPR: 2
; COMPUTE_PGM_RSRC2:TRAP_HANDLER: 0
; COMPUTE_PGM_RSRC2:TGID_X_EN: 1
; COMPUTE_PGM_RSRC2:TGID_Y_EN: 0
; COMPUTE_PGM_RSRC2:TGID_Z_EN: 0
; COMPUTE_PGM_RSRC2:TIDIG_COMP_CNT: 0
	.section	.text._Z30fast_hadamard_transform_kernelI37fast_hadamard_transform_kernel_traitsILi8ELi6E6__halfEEv18HadamardParamsBase,"axG",@progbits,_Z30fast_hadamard_transform_kernelI37fast_hadamard_transform_kernel_traitsILi8ELi6E6__halfEEv18HadamardParamsBase,comdat
	.protected	_Z30fast_hadamard_transform_kernelI37fast_hadamard_transform_kernel_traitsILi8ELi6E6__halfEEv18HadamardParamsBase ; -- Begin function _Z30fast_hadamard_transform_kernelI37fast_hadamard_transform_kernel_traitsILi8ELi6E6__halfEEv18HadamardParamsBase
	.globl	_Z30fast_hadamard_transform_kernelI37fast_hadamard_transform_kernel_traitsILi8ELi6E6__halfEEv18HadamardParamsBase
	.p2align	8
	.type	_Z30fast_hadamard_transform_kernelI37fast_hadamard_transform_kernel_traitsILi8ELi6E6__halfEEv18HadamardParamsBase,@function
_Z30fast_hadamard_transform_kernelI37fast_hadamard_transform_kernel_traitsILi8ELi6E6__halfEEv18HadamardParamsBase: ; @_Z30fast_hadamard_transform_kernelI37fast_hadamard_transform_kernel_traitsILi8ELi6E6__halfEEv18HadamardParamsBase
; %bb.0:
	s_load_b32 s2, s[0:1], 0x4
	v_dual_mov_b32 v8, 0 :: v_dual_lshlrev_b32 v7, 3, v0
	v_dual_mov_b32 v3, 0 :: v_dual_mov_b32 v2, 0
	v_dual_mov_b32 v5, 0 :: v_dual_mov_b32 v4, 0
	;; [unrolled: 1-line block ×3, first 2 shown]
	v_lshlrev_b32_e32 v1, 4, v0
	s_mov_b32 s4, ttmp9
	s_ashr_i32 s5, ttmp9, 31
	s_wait_kmcnt 0x0
	v_cmp_gt_u32_e32 vcc_lo, s2, v7
	v_mov_b32_e32 v7, 0
	s_and_saveexec_b32 s2, vcc_lo
	s_cbranch_execz .LBB16_2
; %bb.1:
	s_clause 0x1
	s_load_b64 s[6:7], s[0:1], 0x10
	s_load_b64 s[8:9], s[0:1], 0x28
	s_wait_kmcnt 0x0
	s_mul_u64 s[6:7], s[6:7], s[4:5]
	s_delay_alu instid0(SALU_CYCLE_1) | instskip(NEXT) | instid1(SALU_CYCLE_1)
	s_lshl_b64 s[6:7], s[6:7], 1
	s_add_nc_u64 s[6:7], s[8:9], s[6:7]
	global_load_b128 v[2:5], v1, s[6:7]
	s_wait_loadcnt 0x0
	v_lshrrev_b32_e32 v8, 16, v2
	v_lshrrev_b32_e32 v10, 16, v3
	;; [unrolled: 1-line block ×4, first 2 shown]
	v_cvt_f32_f16_e32 v7, v2
	v_cvt_f32_f16_e32 v6, v3
	;; [unrolled: 1-line block ×8, first 2 shown]
.LBB16_2:
	s_wait_alu 0xfffe
	s_or_b32 exec_lo, exec_lo, s2
	v_mbcnt_lo_u32_b32 v11, -1, 0
	v_dual_add_f32 v10, v9, v7 :: v_dual_sub_f32 v7, v7, v9
	v_dual_add_f32 v9, v8, v6 :: v_dual_sub_f32 v6, v6, v8
	s_delay_alu instid0(VALU_DEP_3) | instskip(SKIP_3) | instid1(VALU_DEP_4)
	v_xor_b32_e32 v12, 1, v11
	v_add_f32_e32 v8, v5, v4
	v_dual_sub_f32 v4, v4, v5 :: v_dual_add_f32 v5, v3, v2
	v_sub_f32_e32 v2, v2, v3
	v_cmp_gt_i32_e64 s2, 32, v12
	v_add_f32_e32 v3, v9, v10
	v_sub_f32_e32 v9, v10, v9
	v_add_f32_e32 v10, v6, v7
	v_dual_sub_f32 v6, v7, v6 :: v_dual_add_f32 v7, v5, v8
	s_wait_alu 0xf1ff
	v_cndmask_b32_e64 v12, v11, v12, s2
	v_dual_add_f32 v13, v2, v4 :: v_dual_sub_f32 v2, v4, v2
	s_delay_alu instid0(VALU_DEP_3) | instskip(NEXT) | instid1(VALU_DEP_3)
	v_dual_sub_f32 v5, v8, v5 :: v_dual_add_f32 v4, v7, v3
	v_dual_sub_f32 v3, v3, v7 :: v_dual_lshlrev_b32 v8, 2, v12
	s_delay_alu instid0(VALU_DEP_3) | instskip(NEXT) | instid1(VALU_DEP_3)
	v_dual_add_f32 v15, v2, v6 :: v_dual_and_b32 v16, 1, v0
	v_add_f32_e32 v14, v5, v9
	v_sub_f32_e32 v5, v9, v5
	ds_bpermute_b32 v17, v8, v4
	ds_bpermute_b32 v7, v8, v15
	v_cmp_eq_u32_e64 s2, 0, v16
	ds_bpermute_b32 v19, v8, v14
	ds_bpermute_b32 v16, v8, v5
	v_and_b32_e32 v20, 2, v0
	s_wait_alu 0xf1ff
	v_cndmask_b32_e64 v15, -v15, v15, s2
	v_add_f32_e32 v12, v13, v10
	v_cndmask_b32_e64 v9, -v14, v14, s2
	v_sub_f32_e32 v10, v10, v13
	ds_bpermute_b32 v13, v8, v3
	v_cndmask_b32_e64 v3, -v3, v3, s2
	v_sub_f32_e32 v2, v6, v2
	v_cndmask_b32_e64 v4, -v4, v4, s2
	v_cndmask_b32_e64 v5, -v5, v5, s2
	s_wait_dscnt 0x3
	v_add_f32_e32 v7, v15, v7
	ds_bpermute_b32 v18, v8, v12
	v_cndmask_b32_e64 v6, -v12, v12, s2
	v_xor_b32_e32 v12, 2, v11
	s_wait_dscnt 0x3
	v_add_f32_e32 v9, v9, v19
	ds_bpermute_b32 v14, v8, v10
	v_cndmask_b32_e64 v10, -v10, v10, s2
	v_cmp_gt_i32_e64 s3, 32, v12
	s_wait_dscnt 0x2
	v_add_f32_e32 v13, v3, v13
	ds_bpermute_b32 v8, v8, v2
	v_cndmask_b32_e64 v2, -v2, v2, s2
	s_wait_alu 0xf1ff
	v_cndmask_b32_e64 v12, v11, v12, s3
	v_cmp_eq_u32_e64 s2, 0, v20
	s_delay_alu instid0(VALU_DEP_2)
	v_lshlrev_b32_e32 v12, 2, v12
	s_wait_dscnt 0x2
	v_add_f32_e32 v6, v6, v18
	ds_bpermute_b32 v19, v12, v7
	ds_bpermute_b32 v18, v12, v9
	s_wait_dscnt 0x3
	v_add_f32_e32 v10, v10, v14
	v_add_f32_e32 v14, v5, v16
	s_wait_alu 0xf1ff
	v_cndmask_b32_e64 v5, -v7, v7, s2
	v_add_f32_e32 v4, v4, v17
	v_cndmask_b32_e64 v3, -v6, v6, s2
	ds_bpermute_b32 v20, v12, v10
	ds_bpermute_b32 v21, v12, v14
	s_wait_dscnt 0x4
	v_add_f32_e32 v8, v2, v8
	v_cndmask_b32_e64 v7, -v13, v13, s2
	s_wait_dscnt 0x3
	v_add_f32_e32 v5, v5, v19
	ds_bpermute_b32 v15, v12, v4
	v_cndmask_b32_e64 v2, -v4, v4, s2
	v_cndmask_b32_e64 v4, -v9, v9, s2
	;; [unrolled: 1-line block ×4, first 2 shown]
	s_wait_dscnt 0x3
	s_delay_alu instid0(VALU_DEP_3)
	v_add_f32_e32 v4, v4, v18
	s_wait_dscnt 0x2
	v_add_f32_e32 v14, v9, v20
	s_wait_dscnt 0x0
	v_add_f32_e32 v2, v2, v15
	v_add_f32_e32 v15, v10, v21
	ds_bpermute_b32 v17, v12, v6
	ds_bpermute_b32 v16, v12, v13
	;; [unrolled: 1-line block ×3, first 2 shown]
	v_xor_b32_e32 v6, 4, v11
	v_cndmask_b32_e64 v8, -v8, v8, s2
	s_delay_alu instid0(VALU_DEP_2) | instskip(SKIP_1) | instid1(VALU_DEP_1)
	v_cmp_gt_i32_e64 s3, 32, v6
	s_wait_alu 0xf1ff
	v_cndmask_b32_e64 v6, v11, v6, s3
	s_wait_dscnt 0x2
	v_add_f32_e32 v3, v3, v17
	s_wait_dscnt 0x1
	s_delay_alu instid0(VALU_DEP_2)
	v_dual_add_f32 v12, v7, v16 :: v_dual_lshlrev_b32 v17, 2, v6
	s_wait_dscnt 0x0
	v_add_f32_e32 v16, v8, v22
	ds_bpermute_b32 v6, v17, v2
	ds_bpermute_b32 v7, v17, v3
	;; [unrolled: 1-line block ×8, first 2 shown]
	s_and_saveexec_b32 s2, vcc_lo
	s_cbranch_execz .LBB16_4
; %bb.3:
	v_and_b32_e32 v0, 4, v0
	s_clause 0x1
	s_load_b96 s[8:10], s[0:1], 0x18
	s_load_b64 s[0:1], s[0:1], 0x30
	s_delay_alu instid0(VALU_DEP_1)
	v_cmp_eq_u32_e32 vcc_lo, 0, v0
	v_cndmask_b32_e64 v15, -v15, v15, vcc_lo
	v_cndmask_b32_e64 v12, -v12, v12, vcc_lo
	;; [unrolled: 1-line block ×8, first 2 shown]
	s_wait_dscnt 0x1
	v_dual_add_f32 v13, v15, v13 :: v_dual_add_f32 v10, v12, v10
	v_add_f32_e32 v8, v4, v8
	v_add_f32_e32 v2, v2, v6
	s_wait_dscnt 0x0
	v_dual_add_f32 v0, v0, v17 :: v_dual_add_f32 v11, v14, v11
	v_dual_add_f32 v9, v5, v9 :: v_dual_add_f32 v6, v3, v7
	s_wait_kmcnt 0x0
	v_fma_mixlo_f16 v5, s10, v13, 0
	v_fma_mixlo_f16 v4, s10, v10, 0
	;; [unrolled: 1-line block ×4, first 2 shown]
	s_mul_u64 s[2:3], s[8:9], s[4:5]
	v_fma_mixhi_f16 v5, s10, v0, 0
	v_fma_mixhi_f16 v4, s10, v11, 0
	;; [unrolled: 1-line block ×4, first 2 shown]
	s_wait_alu 0xfffe
	s_lshl_b64 s[2:3], s[2:3], 1
	s_wait_alu 0xfffe
	s_add_nc_u64 s[0:1], s[0:1], s[2:3]
	global_store_b128 v1, v[2:5], s[0:1]
.LBB16_4:
	s_endpgm
	.section	.rodata,"a",@progbits
	.p2align	6, 0x0
	.amdhsa_kernel _Z30fast_hadamard_transform_kernelI37fast_hadamard_transform_kernel_traitsILi8ELi6E6__halfEEv18HadamardParamsBase
		.amdhsa_group_segment_fixed_size 0
		.amdhsa_private_segment_fixed_size 0
		.amdhsa_kernarg_size 56
		.amdhsa_user_sgpr_count 2
		.amdhsa_user_sgpr_dispatch_ptr 0
		.amdhsa_user_sgpr_queue_ptr 0
		.amdhsa_user_sgpr_kernarg_segment_ptr 1
		.amdhsa_user_sgpr_dispatch_id 0
		.amdhsa_user_sgpr_private_segment_size 0
		.amdhsa_wavefront_size32 1
		.amdhsa_uses_dynamic_stack 0
		.amdhsa_enable_private_segment 0
		.amdhsa_system_sgpr_workgroup_id_x 1
		.amdhsa_system_sgpr_workgroup_id_y 0
		.amdhsa_system_sgpr_workgroup_id_z 0
		.amdhsa_system_sgpr_workgroup_info 0
		.amdhsa_system_vgpr_workitem_id 0
		.amdhsa_next_free_vgpr 23
		.amdhsa_next_free_sgpr 11
		.amdhsa_reserve_vcc 1
		.amdhsa_float_round_mode_32 0
		.amdhsa_float_round_mode_16_64 0
		.amdhsa_float_denorm_mode_32 3
		.amdhsa_float_denorm_mode_16_64 3
		.amdhsa_fp16_overflow 0
		.amdhsa_workgroup_processor_mode 1
		.amdhsa_memory_ordered 1
		.amdhsa_forward_progress 1
		.amdhsa_inst_pref_size 9
		.amdhsa_round_robin_scheduling 0
		.amdhsa_exception_fp_ieee_invalid_op 0
		.amdhsa_exception_fp_denorm_src 0
		.amdhsa_exception_fp_ieee_div_zero 0
		.amdhsa_exception_fp_ieee_overflow 0
		.amdhsa_exception_fp_ieee_underflow 0
		.amdhsa_exception_fp_ieee_inexact 0
		.amdhsa_exception_int_div_zero 0
	.end_amdhsa_kernel
	.section	.text._Z30fast_hadamard_transform_kernelI37fast_hadamard_transform_kernel_traitsILi8ELi6E6__halfEEv18HadamardParamsBase,"axG",@progbits,_Z30fast_hadamard_transform_kernelI37fast_hadamard_transform_kernel_traitsILi8ELi6E6__halfEEv18HadamardParamsBase,comdat
.Lfunc_end16:
	.size	_Z30fast_hadamard_transform_kernelI37fast_hadamard_transform_kernel_traitsILi8ELi6E6__halfEEv18HadamardParamsBase, .Lfunc_end16-_Z30fast_hadamard_transform_kernelI37fast_hadamard_transform_kernel_traitsILi8ELi6E6__halfEEv18HadamardParamsBase
                                        ; -- End function
	.set _Z30fast_hadamard_transform_kernelI37fast_hadamard_transform_kernel_traitsILi8ELi6E6__halfEEv18HadamardParamsBase.num_vgpr, 23
	.set _Z30fast_hadamard_transform_kernelI37fast_hadamard_transform_kernel_traitsILi8ELi6E6__halfEEv18HadamardParamsBase.num_agpr, 0
	.set _Z30fast_hadamard_transform_kernelI37fast_hadamard_transform_kernel_traitsILi8ELi6E6__halfEEv18HadamardParamsBase.numbered_sgpr, 11
	.set _Z30fast_hadamard_transform_kernelI37fast_hadamard_transform_kernel_traitsILi8ELi6E6__halfEEv18HadamardParamsBase.num_named_barrier, 0
	.set _Z30fast_hadamard_transform_kernelI37fast_hadamard_transform_kernel_traitsILi8ELi6E6__halfEEv18HadamardParamsBase.private_seg_size, 0
	.set _Z30fast_hadamard_transform_kernelI37fast_hadamard_transform_kernel_traitsILi8ELi6E6__halfEEv18HadamardParamsBase.uses_vcc, 1
	.set _Z30fast_hadamard_transform_kernelI37fast_hadamard_transform_kernel_traitsILi8ELi6E6__halfEEv18HadamardParamsBase.uses_flat_scratch, 0
	.set _Z30fast_hadamard_transform_kernelI37fast_hadamard_transform_kernel_traitsILi8ELi6E6__halfEEv18HadamardParamsBase.has_dyn_sized_stack, 0
	.set _Z30fast_hadamard_transform_kernelI37fast_hadamard_transform_kernel_traitsILi8ELi6E6__halfEEv18HadamardParamsBase.has_recursion, 0
	.set _Z30fast_hadamard_transform_kernelI37fast_hadamard_transform_kernel_traitsILi8ELi6E6__halfEEv18HadamardParamsBase.has_indirect_call, 0
	.section	.AMDGPU.csdata,"",@progbits
; Kernel info:
; codeLenInByte = 1116
; TotalNumSgprs: 13
; NumVgprs: 23
; ScratchSize: 0
; MemoryBound: 0
; FloatMode: 240
; IeeeMode: 1
; LDSByteSize: 0 bytes/workgroup (compile time only)
; SGPRBlocks: 0
; VGPRBlocks: 2
; NumSGPRsForWavesPerEU: 13
; NumVGPRsForWavesPerEU: 23
; Occupancy: 16
; WaveLimiterHint : 0
; COMPUTE_PGM_RSRC2:SCRATCH_EN: 0
; COMPUTE_PGM_RSRC2:USER_SGPR: 2
; COMPUTE_PGM_RSRC2:TRAP_HANDLER: 0
; COMPUTE_PGM_RSRC2:TGID_X_EN: 1
; COMPUTE_PGM_RSRC2:TGID_Y_EN: 0
; COMPUTE_PGM_RSRC2:TGID_Z_EN: 0
; COMPUTE_PGM_RSRC2:TIDIG_COMP_CNT: 0
	.section	.text._Z30fast_hadamard_transform_kernelI37fast_hadamard_transform_kernel_traitsILi16ELi7E6__halfEEv18HadamardParamsBase,"axG",@progbits,_Z30fast_hadamard_transform_kernelI37fast_hadamard_transform_kernel_traitsILi16ELi7E6__halfEEv18HadamardParamsBase,comdat
	.protected	_Z30fast_hadamard_transform_kernelI37fast_hadamard_transform_kernel_traitsILi16ELi7E6__halfEEv18HadamardParamsBase ; -- Begin function _Z30fast_hadamard_transform_kernelI37fast_hadamard_transform_kernel_traitsILi16ELi7E6__halfEEv18HadamardParamsBase
	.globl	_Z30fast_hadamard_transform_kernelI37fast_hadamard_transform_kernel_traitsILi16ELi7E6__halfEEv18HadamardParamsBase
	.p2align	8
	.type	_Z30fast_hadamard_transform_kernelI37fast_hadamard_transform_kernel_traitsILi16ELi7E6__halfEEv18HadamardParamsBase,@function
_Z30fast_hadamard_transform_kernelI37fast_hadamard_transform_kernel_traitsILi16ELi7E6__halfEEv18HadamardParamsBase: ; @_Z30fast_hadamard_transform_kernelI37fast_hadamard_transform_kernel_traitsILi16ELi7E6__halfEEv18HadamardParamsBase
; %bb.0:
	s_load_b32 s2, s[0:1], 0x4
	v_dual_mov_b32 v9, 0 :: v_dual_lshlrev_b32 v8, 3, v0
	v_dual_mov_b32 v3, 0 :: v_dual_mov_b32 v2, 0
	v_dual_mov_b32 v6, 0 :: v_dual_mov_b32 v7, 0
	;; [unrolled: 1-line block ×3, first 2 shown]
	v_lshlrev_b32_e32 v1, 4, v0
	s_mov_b32 s4, ttmp9
	s_ashr_i32 s5, ttmp9, 31
	s_wait_kmcnt 0x0
	v_cmp_gt_u32_e32 vcc_lo, s2, v8
	v_mov_b32_e32 v8, 0
	s_and_saveexec_b32 s2, vcc_lo
	s_cbranch_execz .LBB17_2
; %bb.1:
	s_clause 0x1
	s_load_b64 s[6:7], s[0:1], 0x10
	s_load_b64 s[8:9], s[0:1], 0x28
	s_wait_kmcnt 0x0
	s_mul_u64 s[6:7], s[6:7], s[4:5]
	s_delay_alu instid0(SALU_CYCLE_1) | instskip(NEXT) | instid1(SALU_CYCLE_1)
	s_lshl_b64 s[6:7], s[6:7], 1
	s_add_nc_u64 s[6:7], s[8:9], s[6:7]
	global_load_b128 v[4:7], v1, s[6:7]
	s_wait_loadcnt 0x0
	v_lshrrev_b32_e32 v3, 16, v4
	v_lshrrev_b32_e32 v10, 16, v5
	;; [unrolled: 1-line block ×4, first 2 shown]
	v_cvt_f32_f16_e32 v8, v4
	v_cvt_f32_f16_e32 v5, v5
	;; [unrolled: 1-line block ×8, first 2 shown]
.LBB17_2:
	s_wait_alu 0xfffe
	s_or_b32 exec_lo, exec_lo, s2
	v_mbcnt_lo_u32_b32 v11, -1, 0
	v_add_f32_e32 v10, v9, v8
	v_dual_sub_f32 v8, v8, v9 :: v_dual_add_f32 v13, v3, v2
	v_dual_add_f32 v9, v7, v5 :: v_dual_add_f32 v12, v6, v4
	v_sub_f32_e32 v5, v5, v7
	v_xor_b32_e32 v14, 1, v11
	v_sub_f32_e32 v4, v4, v6
	s_delay_alu instid0(VALU_DEP_4) | instskip(SKIP_1) | instid1(VALU_DEP_4)
	v_add_f32_e32 v6, v9, v10
	v_dual_add_f32 v7, v13, v12 :: v_dual_sub_f32 v2, v2, v3
	v_cmp_gt_i32_e64 s2, 32, v14
	v_sub_f32_e32 v3, v10, v9
	s_delay_alu instid0(VALU_DEP_3)
	v_dual_add_f32 v9, v5, v8 :: v_dual_add_f32 v10, v7, v6
	v_sub_f32_e32 v5, v8, v5
	s_wait_alu 0xf1ff
	v_cndmask_b32_e64 v14, v11, v14, s2
	v_dual_sub_f32 v8, v12, v13 :: v_dual_and_b32 v17, 1, v0
	v_add_f32_e32 v12, v2, v4
	v_xor_b32_e32 v20, 2, v11
	s_delay_alu instid0(VALU_DEP_3) | instskip(NEXT) | instid1(VALU_DEP_3)
	v_dual_add_f32 v15, v8, v3 :: v_dual_lshlrev_b32 v14, 2, v14
	v_add_f32_e32 v13, v12, v9
	v_dual_sub_f32 v2, v4, v2 :: v_dual_sub_f32 v9, v9, v12
	v_cmp_eq_u32_e64 s2, 0, v17
	ds_bpermute_b32 v4, v14, v10
	ds_bpermute_b32 v18, v14, v15
	v_dual_add_f32 v16, v2, v5 :: v_dual_sub_f32 v3, v3, v8
	s_wait_alu 0xf1ff
	v_cndmask_b32_e64 v8, -v15, v15, s2
	v_sub_f32_e32 v6, v6, v7
	ds_bpermute_b32 v7, v14, v13
	ds_bpermute_b32 v19, v14, v16
	v_sub_f32_e32 v2, v5, v2
	v_cndmask_b32_e64 v5, -v13, v13, s2
	ds_bpermute_b32 v13, v14, v3
	v_cndmask_b32_e64 v10, -v10, v10, s2
	v_cmp_gt_i32_e64 s3, 32, v20
	ds_bpermute_b32 v12, v14, v9
	v_cndmask_b32_e64 v9, -v9, v9, s2
	v_cndmask_b32_e64 v3, -v3, v3, s2
	s_wait_alu 0xf1ff
	v_cndmask_b32_e64 v15, v11, v20, s3
	v_and_b32_e32 v20, 4, v0
	s_wait_dscnt 0x5
	v_add_f32_e32 v4, v10, v4
	v_cndmask_b32_e64 v10, -v16, v16, s2
	s_wait_dscnt 0x3
	v_add_f32_e32 v5, v5, v7
	v_add_f32_e32 v7, v8, v18
	ds_bpermute_b32 v21, v14, v6
	s_wait_dscnt 0x3
	v_add_f32_e32 v8, v10, v19
	s_wait_dscnt 0x2
	v_dual_add_f32 v3, v3, v13 :: v_dual_lshlrev_b32 v10, 2, v15
	v_and_b32_e32 v15, 2, v0
	ds_bpermute_b32 v14, v14, v2
	v_cndmask_b32_e64 v6, -v6, v6, s2
	ds_bpermute_b32 v18, v10, v7
	v_cndmask_b32_e64 v2, -v2, v2, s2
	v_cmp_eq_u32_e64 s2, 0, v15
	ds_bpermute_b32 v17, v10, v5
	s_wait_dscnt 0x4
	v_add_f32_e32 v9, v9, v12
	v_xor_b32_e32 v12, 4, v11
	ds_bpermute_b32 v15, v10, v3
	s_wait_alu 0xf1ff
	v_cndmask_b32_e64 v7, -v7, v7, s2
	v_cndmask_b32_e64 v5, -v5, v5, s2
	ds_bpermute_b32 v16, v10, v4
	v_cmp_gt_i32_e64 s3, 32, v12
	ds_bpermute_b32 v19, v10, v8
	v_cndmask_b32_e64 v3, -v3, v3, s2
	s_wait_dscnt 0x6
	v_add_f32_e32 v6, v6, v21
	v_cndmask_b32_e64 v4, -v4, v4, s2
	s_wait_alu 0xf1ff
	v_cndmask_b32_e64 v12, v11, v12, s3
	v_cndmask_b32_e64 v8, -v8, v8, s2
	s_wait_dscnt 0x5
	v_add_f32_e32 v2, v2, v14
	ds_bpermute_b32 v14, v10, v9
	s_wait_dscnt 0x5
	v_add_f32_e32 v7, v7, v18
	ds_bpermute_b32 v13, v10, v6
	s_wait_dscnt 0x5
	v_dual_add_f32 v5, v5, v17 :: v_dual_lshlrev_b32 v12, 2, v12
	v_cndmask_b32_e64 v6, -v6, v6, s2
	ds_bpermute_b32 v10, v10, v2
	v_cndmask_b32_e64 v9, -v9, v9, s2
	v_cndmask_b32_e64 v2, -v2, v2, s2
	v_cmp_eq_u32_e64 s2, 0, v20
	s_wait_dscnt 0x2
	s_delay_alu instid0(VALU_DEP_3)
	v_dual_add_f32 v4, v4, v16 :: v_dual_add_f32 v9, v9, v14
	s_wait_dscnt 0x1
	v_dual_add_f32 v6, v6, v13 :: v_dual_add_f32 v13, v3, v15
	ds_bpermute_b32 v17, v12, v5
	s_wait_alu 0xf1ff
	v_cndmask_b32_e64 v3, -v5, v5, s2
	v_add_f32_e32 v8, v8, v19
	ds_bpermute_b32 v16, v12, v4
	ds_bpermute_b32 v18, v12, v7
	;; [unrolled: 1-line block ×4, first 2 shown]
	s_wait_dscnt 0x4
	v_add_f32_e32 v3, v3, v17
	ds_bpermute_b32 v19, v12, v8
	v_cndmask_b32_e64 v5, -v8, v8, s2
	v_cndmask_b32_e64 v8, -v9, v9, s2
	;; [unrolled: 1-line block ×3, first 2 shown]
	v_add_f32_e32 v10, v2, v10
	v_cndmask_b32_e64 v2, -v4, v4, s2
	v_cndmask_b32_e64 v4, -v7, v7, s2
	v_xor_b32_e32 v7, 8, v11
	ds_bpermute_b32 v21, v12, v10
	s_wait_dscnt 0x5
	v_add_f32_e32 v2, v2, v16
	s_wait_dscnt 0x4
	v_add_f32_e32 v4, v4, v18
	v_cmp_gt_i32_e64 s3, 32, v7
	s_wait_alu 0xf1ff
	s_delay_alu instid0(VALU_DEP_1) | instskip(SKIP_2) | instid1(VALU_DEP_2)
	v_cndmask_b32_e64 v7, v11, v7, s3
	s_wait_dscnt 0x1
	v_add_f32_e32 v5, v5, v19
	v_lshlrev_b32_e32 v17, 2, v7
	ds_bpermute_b32 v14, v12, v6
	v_cndmask_b32_e64 v6, -v6, v6, s2
	ds_bpermute_b32 v7, v17, v3
	s_wait_dscnt 0x1
	v_add_f32_e32 v12, v6, v14
	v_dual_add_f32 v14, v8, v15 :: v_dual_add_f32 v15, v9, v20
	v_cndmask_b32_e64 v10, -v10, v10, s2
	ds_bpermute_b32 v6, v17, v2
	ds_bpermute_b32 v8, v17, v4
	ds_bpermute_b32 v9, v17, v5
	ds_bpermute_b32 v11, v17, v14
	v_add_f32_e32 v16, v10, v21
	ds_bpermute_b32 v10, v17, v12
	ds_bpermute_b32 v13, v17, v15
	;; [unrolled: 1-line block ×3, first 2 shown]
	s_and_saveexec_b32 s2, vcc_lo
	s_cbranch_execz .LBB17_4
; %bb.3:
	v_and_b32_e32 v0, 8, v0
	s_clause 0x1
	s_load_b96 s[8:10], s[0:1], 0x18
	s_load_b64 s[0:1], s[0:1], 0x30
	s_delay_alu instid0(VALU_DEP_1)
	v_cmp_eq_u32_e32 vcc_lo, 0, v0
	v_cndmask_b32_e64 v15, -v15, v15, vcc_lo
	v_cndmask_b32_e64 v12, -v12, v12, vcc_lo
	;; [unrolled: 1-line block ×8, first 2 shown]
	s_wait_dscnt 0x1
	v_dual_add_f32 v13, v15, v13 :: v_dual_add_f32 v10, v12, v10
	v_add_f32_e32 v8, v4, v8
	v_add_f32_e32 v2, v2, v6
	s_wait_dscnt 0x0
	v_dual_add_f32 v0, v0, v17 :: v_dual_add_f32 v11, v14, v11
	v_dual_add_f32 v9, v5, v9 :: v_dual_add_f32 v6, v3, v7
	s_wait_kmcnt 0x0
	v_fma_mixlo_f16 v5, s10, v13, 0
	v_fma_mixlo_f16 v4, s10, v10, 0
	;; [unrolled: 1-line block ×4, first 2 shown]
	s_mul_u64 s[2:3], s[8:9], s[4:5]
	v_fma_mixhi_f16 v5, s10, v0, 0
	v_fma_mixhi_f16 v4, s10, v11, 0
	;; [unrolled: 1-line block ×4, first 2 shown]
	s_wait_alu 0xfffe
	s_lshl_b64 s[2:3], s[2:3], 1
	s_wait_alu 0xfffe
	s_add_nc_u64 s[0:1], s[0:1], s[2:3]
	global_store_b128 v1, v[2:5], s[0:1]
.LBB17_4:
	s_endpgm
	.section	.rodata,"a",@progbits
	.p2align	6, 0x0
	.amdhsa_kernel _Z30fast_hadamard_transform_kernelI37fast_hadamard_transform_kernel_traitsILi16ELi7E6__halfEEv18HadamardParamsBase
		.amdhsa_group_segment_fixed_size 0
		.amdhsa_private_segment_fixed_size 0
		.amdhsa_kernarg_size 56
		.amdhsa_user_sgpr_count 2
		.amdhsa_user_sgpr_dispatch_ptr 0
		.amdhsa_user_sgpr_queue_ptr 0
		.amdhsa_user_sgpr_kernarg_segment_ptr 1
		.amdhsa_user_sgpr_dispatch_id 0
		.amdhsa_user_sgpr_private_segment_size 0
		.amdhsa_wavefront_size32 1
		.amdhsa_uses_dynamic_stack 0
		.amdhsa_enable_private_segment 0
		.amdhsa_system_sgpr_workgroup_id_x 1
		.amdhsa_system_sgpr_workgroup_id_y 0
		.amdhsa_system_sgpr_workgroup_id_z 0
		.amdhsa_system_sgpr_workgroup_info 0
		.amdhsa_system_vgpr_workitem_id 0
		.amdhsa_next_free_vgpr 22
		.amdhsa_next_free_sgpr 11
		.amdhsa_reserve_vcc 1
		.amdhsa_float_round_mode_32 0
		.amdhsa_float_round_mode_16_64 0
		.amdhsa_float_denorm_mode_32 3
		.amdhsa_float_denorm_mode_16_64 3
		.amdhsa_fp16_overflow 0
		.amdhsa_workgroup_processor_mode 1
		.amdhsa_memory_ordered 1
		.amdhsa_forward_progress 1
		.amdhsa_inst_pref_size 11
		.amdhsa_round_robin_scheduling 0
		.amdhsa_exception_fp_ieee_invalid_op 0
		.amdhsa_exception_fp_denorm_src 0
		.amdhsa_exception_fp_ieee_div_zero 0
		.amdhsa_exception_fp_ieee_overflow 0
		.amdhsa_exception_fp_ieee_underflow 0
		.amdhsa_exception_fp_ieee_inexact 0
		.amdhsa_exception_int_div_zero 0
	.end_amdhsa_kernel
	.section	.text._Z30fast_hadamard_transform_kernelI37fast_hadamard_transform_kernel_traitsILi16ELi7E6__halfEEv18HadamardParamsBase,"axG",@progbits,_Z30fast_hadamard_transform_kernelI37fast_hadamard_transform_kernel_traitsILi16ELi7E6__halfEEv18HadamardParamsBase,comdat
.Lfunc_end17:
	.size	_Z30fast_hadamard_transform_kernelI37fast_hadamard_transform_kernel_traitsILi16ELi7E6__halfEEv18HadamardParamsBase, .Lfunc_end17-_Z30fast_hadamard_transform_kernelI37fast_hadamard_transform_kernel_traitsILi16ELi7E6__halfEEv18HadamardParamsBase
                                        ; -- End function
	.set _Z30fast_hadamard_transform_kernelI37fast_hadamard_transform_kernel_traitsILi16ELi7E6__halfEEv18HadamardParamsBase.num_vgpr, 22
	.set _Z30fast_hadamard_transform_kernelI37fast_hadamard_transform_kernel_traitsILi16ELi7E6__halfEEv18HadamardParamsBase.num_agpr, 0
	.set _Z30fast_hadamard_transform_kernelI37fast_hadamard_transform_kernel_traitsILi16ELi7E6__halfEEv18HadamardParamsBase.numbered_sgpr, 11
	.set _Z30fast_hadamard_transform_kernelI37fast_hadamard_transform_kernel_traitsILi16ELi7E6__halfEEv18HadamardParamsBase.num_named_barrier, 0
	.set _Z30fast_hadamard_transform_kernelI37fast_hadamard_transform_kernel_traitsILi16ELi7E6__halfEEv18HadamardParamsBase.private_seg_size, 0
	.set _Z30fast_hadamard_transform_kernelI37fast_hadamard_transform_kernel_traitsILi16ELi7E6__halfEEv18HadamardParamsBase.uses_vcc, 1
	.set _Z30fast_hadamard_transform_kernelI37fast_hadamard_transform_kernel_traitsILi16ELi7E6__halfEEv18HadamardParamsBase.uses_flat_scratch, 0
	.set _Z30fast_hadamard_transform_kernelI37fast_hadamard_transform_kernel_traitsILi16ELi7E6__halfEEv18HadamardParamsBase.has_dyn_sized_stack, 0
	.set _Z30fast_hadamard_transform_kernelI37fast_hadamard_transform_kernel_traitsILi16ELi7E6__halfEEv18HadamardParamsBase.has_recursion, 0
	.set _Z30fast_hadamard_transform_kernelI37fast_hadamard_transform_kernel_traitsILi16ELi7E6__halfEEv18HadamardParamsBase.has_indirect_call, 0
	.section	.AMDGPU.csdata,"",@progbits
; Kernel info:
; codeLenInByte = 1324
; TotalNumSgprs: 13
; NumVgprs: 22
; ScratchSize: 0
; MemoryBound: 0
; FloatMode: 240
; IeeeMode: 1
; LDSByteSize: 0 bytes/workgroup (compile time only)
; SGPRBlocks: 0
; VGPRBlocks: 2
; NumSGPRsForWavesPerEU: 13
; NumVGPRsForWavesPerEU: 22
; Occupancy: 16
; WaveLimiterHint : 0
; COMPUTE_PGM_RSRC2:SCRATCH_EN: 0
; COMPUTE_PGM_RSRC2:USER_SGPR: 2
; COMPUTE_PGM_RSRC2:TRAP_HANDLER: 0
; COMPUTE_PGM_RSRC2:TGID_X_EN: 1
; COMPUTE_PGM_RSRC2:TGID_Y_EN: 0
; COMPUTE_PGM_RSRC2:TGID_Z_EN: 0
; COMPUTE_PGM_RSRC2:TIDIG_COMP_CNT: 0
	.section	.text._Z30fast_hadamard_transform_kernelI37fast_hadamard_transform_kernel_traitsILi32ELi8E6__halfEEv18HadamardParamsBase,"axG",@progbits,_Z30fast_hadamard_transform_kernelI37fast_hadamard_transform_kernel_traitsILi32ELi8E6__halfEEv18HadamardParamsBase,comdat
	.protected	_Z30fast_hadamard_transform_kernelI37fast_hadamard_transform_kernel_traitsILi32ELi8E6__halfEEv18HadamardParamsBase ; -- Begin function _Z30fast_hadamard_transform_kernelI37fast_hadamard_transform_kernel_traitsILi32ELi8E6__halfEEv18HadamardParamsBase
	.globl	_Z30fast_hadamard_transform_kernelI37fast_hadamard_transform_kernel_traitsILi32ELi8E6__halfEEv18HadamardParamsBase
	.p2align	8
	.type	_Z30fast_hadamard_transform_kernelI37fast_hadamard_transform_kernel_traitsILi32ELi8E6__halfEEv18HadamardParamsBase,@function
_Z30fast_hadamard_transform_kernelI37fast_hadamard_transform_kernel_traitsILi32ELi8E6__halfEEv18HadamardParamsBase: ; @_Z30fast_hadamard_transform_kernelI37fast_hadamard_transform_kernel_traitsILi32ELi8E6__halfEEv18HadamardParamsBase
; %bb.0:
	s_load_b32 s2, s[0:1], 0x4
	v_dual_mov_b32 v9, 0 :: v_dual_lshlrev_b32 v8, 3, v0
	v_dual_mov_b32 v3, 0 :: v_dual_mov_b32 v2, 0
	v_dual_mov_b32 v6, 0 :: v_dual_mov_b32 v7, 0
	;; [unrolled: 1-line block ×3, first 2 shown]
	v_lshlrev_b32_e32 v1, 4, v0
	s_mov_b32 s4, ttmp9
	s_ashr_i32 s5, ttmp9, 31
	s_wait_kmcnt 0x0
	v_cmp_gt_u32_e32 vcc_lo, s2, v8
	v_mov_b32_e32 v8, 0
	s_and_saveexec_b32 s2, vcc_lo
	s_cbranch_execz .LBB18_2
; %bb.1:
	s_clause 0x1
	s_load_b64 s[6:7], s[0:1], 0x10
	s_load_b64 s[8:9], s[0:1], 0x28
	s_wait_kmcnt 0x0
	s_mul_u64 s[6:7], s[6:7], s[4:5]
	s_delay_alu instid0(SALU_CYCLE_1) | instskip(NEXT) | instid1(SALU_CYCLE_1)
	s_lshl_b64 s[6:7], s[6:7], 1
	s_add_nc_u64 s[6:7], s[8:9], s[6:7]
	global_load_b128 v[4:7], v1, s[6:7]
	s_wait_loadcnt 0x0
	v_lshrrev_b32_e32 v3, 16, v4
	v_lshrrev_b32_e32 v10, 16, v5
	;; [unrolled: 1-line block ×4, first 2 shown]
	v_cvt_f32_f16_e32 v8, v4
	v_cvt_f32_f16_e32 v5, v5
	;; [unrolled: 1-line block ×8, first 2 shown]
.LBB18_2:
	s_wait_alu 0xfffe
	s_or_b32 exec_lo, exec_lo, s2
	v_mbcnt_lo_u32_b32 v10, -1, 0
	v_dual_add_f32 v11, v9, v8 :: v_dual_add_f32 v12, v7, v5
	v_dual_add_f32 v13, v6, v4 :: v_dual_add_f32 v14, v3, v2
	s_delay_alu instid0(VALU_DEP_3) | instskip(SKIP_1) | instid1(VALU_DEP_3)
	v_xor_b32_e32 v15, 1, v10
	v_dual_sub_f32 v8, v8, v9 :: v_dual_sub_f32 v5, v5, v7
	v_dual_add_f32 v9, v12, v11 :: v_dual_add_f32 v16, v14, v13
	s_delay_alu instid0(VALU_DEP_3) | instskip(SKIP_1) | instid1(VALU_DEP_3)
	v_cmp_gt_i32_e64 s2, 32, v15
	v_dual_sub_f32 v4, v4, v6 :: v_dual_sub_f32 v7, v11, v12
	v_dual_sub_f32 v2, v2, v3 :: v_dual_add_f32 v3, v16, v9
	s_wait_alu 0xf1ff
	s_delay_alu instid0(VALU_DEP_3) | instskip(SKIP_3) | instid1(VALU_DEP_4)
	v_cndmask_b32_e64 v15, v10, v15, s2
	v_sub_f32_e32 v13, v13, v14
	v_xor_b32_e32 v14, 2, v10
	v_sub_f32_e32 v9, v9, v16
	v_dual_add_f32 v11, v5, v8 :: v_dual_lshlrev_b32 v6, 2, v15
	v_dual_sub_f32 v5, v8, v5 :: v_dual_add_f32 v8, v2, v4
	v_sub_f32_e32 v2, v4, v2
	v_and_b32_e32 v4, 1, v0
	ds_bpermute_b32 v12, v6, v3
	v_add_f32_e32 v17, v13, v7
	v_dual_add_f32 v15, v8, v11 :: v_dual_add_f32 v18, v2, v5
	v_cmp_eq_u32_e64 s2, 0, v4
	v_cmp_gt_i32_e64 s3, 32, v14
	ds_bpermute_b32 v16, v6, v17
	v_sub_f32_e32 v4, v7, v13
	ds_bpermute_b32 v19, v6, v18
	ds_bpermute_b32 v20, v6, v9
	s_wait_alu 0xf1ff
	v_cndmask_b32_e64 v3, -v3, v3, s2
	v_sub_f32_e32 v2, v5, v2
	v_cndmask_b32_e64 v5, v10, v14, s3
	v_sub_f32_e32 v8, v11, v8
	ds_bpermute_b32 v11, v6, v15
	v_cndmask_b32_e64 v7, -v15, v15, s2
	ds_bpermute_b32 v15, v6, v4
	v_lshlrev_b32_e32 v5, 2, v5
	ds_bpermute_b32 v14, v6, v8
	v_cndmask_b32_e64 v13, -v18, v18, s2
	s_wait_dscnt 0x6
	v_add_f32_e32 v3, v3, v12
	ds_bpermute_b32 v6, v6, v2
	v_cndmask_b32_e64 v12, -v17, v17, s2
	v_cndmask_b32_e64 v9, -v9, v9, s2
	;; [unrolled: 1-line block ×5, first 2 shown]
	ds_bpermute_b32 v17, v5, v3
	s_wait_dscnt 0x5
	v_add_f32_e32 v9, v9, v20
	s_wait_dscnt 0x4
	v_add_f32_e32 v7, v7, v11
	v_dual_add_f32 v11, v12, v16 :: v_dual_add_f32 v12, v13, v19
	s_wait_dscnt 0x2
	v_dual_add_f32 v8, v8, v14 :: v_dual_and_b32 v13, 2, v0
	v_add_f32_e32 v4, v4, v15
	ds_bpermute_b32 v18, v5, v11
	s_wait_dscnt 0x2
	v_add_f32_e32 v2, v2, v6
	v_cmp_eq_u32_e64 s2, 0, v13
	ds_bpermute_b32 v13, v5, v9
	ds_bpermute_b32 v16, v5, v7
	;; [unrolled: 1-line block ×4, first 2 shown]
	s_wait_alu 0xf1ff
	v_cndmask_b32_e64 v6, -v7, v7, s2
	v_cndmask_b32_e64 v7, -v11, v11, s2
	v_xor_b32_e32 v11, 4, v10
	ds_bpermute_b32 v15, v5, v4
	ds_bpermute_b32 v5, v5, v2
	v_cndmask_b32_e64 v3, -v3, v3, s2
	v_cndmask_b32_e64 v9, -v9, v9, s2
	v_cmp_gt_i32_e64 s3, 32, v11
	v_cndmask_b32_e64 v12, -v12, v12, s2
	v_cndmask_b32_e64 v8, -v8, v8, s2
	s_wait_dscnt 0x7
	v_add_f32_e32 v3, v3, v17
	v_cndmask_b32_e64 v4, -v4, v4, s2
	s_wait_alu 0xf1ff
	v_cndmask_b32_e64 v11, v10, v11, s3
	s_wait_dscnt 0x6
	v_add_f32_e32 v7, v7, v18
	v_cndmask_b32_e64 v2, -v2, v2, s2
	s_wait_dscnt 0x5
	v_add_f32_e32 v9, v9, v13
	v_lshlrev_b32_e32 v11, 2, v11
	v_and_b32_e32 v13, 4, v0
	s_wait_dscnt 0x4
	v_add_f32_e32 v6, v6, v16
	s_wait_dscnt 0x3
	v_add_f32_e32 v12, v12, v19
	s_wait_dscnt 0x2
	v_add_f32_e32 v8, v8, v14
	ds_bpermute_b32 v16, v11, v3
	ds_bpermute_b32 v18, v11, v7
	s_wait_dscnt 0x2
	v_add_f32_e32 v2, v2, v5
	v_cmp_eq_u32_e64 s2, 0, v13
	ds_bpermute_b32 v17, v11, v6
	ds_bpermute_b32 v14, v11, v8
	v_add_f32_e32 v4, v4, v15
	ds_bpermute_b32 v13, v11, v9
	s_wait_alu 0xf1ff
	v_cndmask_b32_e64 v5, -v6, v6, s2
	v_cndmask_b32_e64 v6, -v7, v7, s2
	v_xor_b32_e32 v7, 8, v10
	v_cndmask_b32_e64 v3, -v3, v3, s2
	ds_bpermute_b32 v19, v11, v12
	ds_bpermute_b32 v15, v11, v4
	;; [unrolled: 1-line block ×3, first 2 shown]
	v_cmp_gt_i32_e64 s3, 32, v7
	v_cndmask_b32_e64 v8, -v8, v8, s2
	v_cndmask_b32_e64 v9, -v9, v9, s2
	v_and_b32_e32 v20, 8, v0
	v_cndmask_b32_e64 v12, -v12, v12, s2
	s_wait_alu 0xf1ff
	v_cndmask_b32_e64 v7, v10, v7, s3
	s_wait_dscnt 0x6
	v_dual_add_f32 v3, v3, v16 :: v_dual_add_f32 v6, v6, v18
	v_cndmask_b32_e64 v4, -v4, v4, s2
	v_cndmask_b32_e64 v2, -v2, v2, s2
	s_wait_dscnt 0x4
	v_dual_add_f32 v8, v8, v14 :: v_dual_lshlrev_b32 v7, 2, v7
	s_wait_dscnt 0x3
	v_add_f32_e32 v9, v9, v13
	v_cmp_eq_u32_e64 s2, 0, v20
	v_add_f32_e32 v5, v5, v17
	ds_bpermute_b32 v16, v7, v3
	ds_bpermute_b32 v18, v7, v6
	s_wait_dscnt 0x4
	v_add_f32_e32 v12, v12, v19
	ds_bpermute_b32 v14, v7, v9
	s_wait_dscnt 0x3
	v_add_f32_e32 v11, v2, v11
	s_wait_alu 0xf1ff
	v_cndmask_b32_e64 v2, -v3, v3, s2
	v_add_f32_e32 v13, v4, v15
	v_cndmask_b32_e64 v4, -v6, v6, s2
	ds_bpermute_b32 v17, v7, v5
	ds_bpermute_b32 v19, v7, v12
	;; [unrolled: 1-line block ×3, first 2 shown]
	v_xor_b32_e32 v6, 16, v10
	v_cndmask_b32_e64 v3, -v5, v5, s2
	v_cndmask_b32_e64 v5, -v12, v12, s2
	v_cndmask_b32_e64 v9, -v9, v9, s2
	v_cndmask_b32_e64 v8, -v8, v8, s2
	v_cmp_gt_i32_e64 s3, 32, v6
	s_wait_dscnt 0x5
	v_add_f32_e32 v2, v2, v16
	ds_bpermute_b32 v20, v7, v13
	s_wait_dscnt 0x5
	v_add_f32_e32 v4, v4, v18
	ds_bpermute_b32 v7, v7, v11
	s_wait_alu 0xf1ff
	v_cndmask_b32_e64 v6, v10, v6, s3
	v_cndmask_b32_e64 v10, -v13, v13, s2
	v_cndmask_b32_e64 v11, -v11, v11, s2
	s_wait_dscnt 0x4
	v_dual_add_f32 v12, v9, v14 :: v_dual_add_f32 v3, v3, v17
	s_wait_dscnt 0x3
	v_add_f32_e32 v5, v5, v19
	s_wait_dscnt 0x2
	v_dual_add_f32 v14, v8, v15 :: v_dual_lshlrev_b32 v17, 2, v6
	ds_bpermute_b32 v6, v17, v2
	ds_bpermute_b32 v8, v17, v4
	;; [unrolled: 1-line block ×3, first 2 shown]
	s_wait_dscnt 0x4
	v_add_f32_e32 v15, v10, v20
	ds_bpermute_b32 v10, v17, v12
	s_wait_dscnt 0x4
	v_add_f32_e32 v16, v11, v7
	ds_bpermute_b32 v7, v17, v3
	ds_bpermute_b32 v11, v17, v14
	;; [unrolled: 1-line block ×4, first 2 shown]
	s_and_saveexec_b32 s2, vcc_lo
	s_cbranch_execz .LBB18_4
; %bb.3:
	v_and_b32_e32 v0, 16, v0
	s_clause 0x1
	s_load_b96 s[8:10], s[0:1], 0x18
	s_load_b64 s[0:1], s[0:1], 0x30
	s_delay_alu instid0(VALU_DEP_1)
	v_cmp_eq_u32_e32 vcc_lo, 0, v0
	v_cndmask_b32_e64 v15, -v15, v15, vcc_lo
	v_cndmask_b32_e64 v12, -v12, v12, vcc_lo
	;; [unrolled: 1-line block ×8, first 2 shown]
	s_wait_dscnt 0x1
	v_dual_add_f32 v13, v15, v13 :: v_dual_add_f32 v10, v12, v10
	v_add_f32_e32 v8, v4, v8
	v_add_f32_e32 v2, v2, v6
	s_wait_dscnt 0x0
	v_dual_add_f32 v0, v0, v17 :: v_dual_add_f32 v11, v14, v11
	v_dual_add_f32 v9, v5, v9 :: v_dual_add_f32 v6, v3, v7
	s_wait_kmcnt 0x0
	v_fma_mixlo_f16 v5, s10, v13, 0
	v_fma_mixlo_f16 v4, s10, v10, 0
	;; [unrolled: 1-line block ×4, first 2 shown]
	s_mul_u64 s[2:3], s[8:9], s[4:5]
	v_fma_mixhi_f16 v5, s10, v0, 0
	v_fma_mixhi_f16 v4, s10, v11, 0
	;; [unrolled: 1-line block ×4, first 2 shown]
	s_wait_alu 0xfffe
	s_lshl_b64 s[2:3], s[2:3], 1
	s_wait_alu 0xfffe
	s_add_nc_u64 s[0:1], s[0:1], s[2:3]
	global_store_b128 v1, v[2:5], s[0:1]
.LBB18_4:
	s_endpgm
	.section	.rodata,"a",@progbits
	.p2align	6, 0x0
	.amdhsa_kernel _Z30fast_hadamard_transform_kernelI37fast_hadamard_transform_kernel_traitsILi32ELi8E6__halfEEv18HadamardParamsBase
		.amdhsa_group_segment_fixed_size 0
		.amdhsa_private_segment_fixed_size 0
		.amdhsa_kernarg_size 56
		.amdhsa_user_sgpr_count 2
		.amdhsa_user_sgpr_dispatch_ptr 0
		.amdhsa_user_sgpr_queue_ptr 0
		.amdhsa_user_sgpr_kernarg_segment_ptr 1
		.amdhsa_user_sgpr_dispatch_id 0
		.amdhsa_user_sgpr_private_segment_size 0
		.amdhsa_wavefront_size32 1
		.amdhsa_uses_dynamic_stack 0
		.amdhsa_enable_private_segment 0
		.amdhsa_system_sgpr_workgroup_id_x 1
		.amdhsa_system_sgpr_workgroup_id_y 0
		.amdhsa_system_sgpr_workgroup_id_z 0
		.amdhsa_system_sgpr_workgroup_info 0
		.amdhsa_system_vgpr_workitem_id 0
		.amdhsa_next_free_vgpr 21
		.amdhsa_next_free_sgpr 11
		.amdhsa_reserve_vcc 1
		.amdhsa_float_round_mode_32 0
		.amdhsa_float_round_mode_16_64 0
		.amdhsa_float_denorm_mode_32 3
		.amdhsa_float_denorm_mode_16_64 3
		.amdhsa_fp16_overflow 0
		.amdhsa_workgroup_processor_mode 1
		.amdhsa_memory_ordered 1
		.amdhsa_forward_progress 1
		.amdhsa_inst_pref_size 13
		.amdhsa_round_robin_scheduling 0
		.amdhsa_exception_fp_ieee_invalid_op 0
		.amdhsa_exception_fp_denorm_src 0
		.amdhsa_exception_fp_ieee_div_zero 0
		.amdhsa_exception_fp_ieee_overflow 0
		.amdhsa_exception_fp_ieee_underflow 0
		.amdhsa_exception_fp_ieee_inexact 0
		.amdhsa_exception_int_div_zero 0
	.end_amdhsa_kernel
	.section	.text._Z30fast_hadamard_transform_kernelI37fast_hadamard_transform_kernel_traitsILi32ELi8E6__halfEEv18HadamardParamsBase,"axG",@progbits,_Z30fast_hadamard_transform_kernelI37fast_hadamard_transform_kernel_traitsILi32ELi8E6__halfEEv18HadamardParamsBase,comdat
.Lfunc_end18:
	.size	_Z30fast_hadamard_transform_kernelI37fast_hadamard_transform_kernel_traitsILi32ELi8E6__halfEEv18HadamardParamsBase, .Lfunc_end18-_Z30fast_hadamard_transform_kernelI37fast_hadamard_transform_kernel_traitsILi32ELi8E6__halfEEv18HadamardParamsBase
                                        ; -- End function
	.set _Z30fast_hadamard_transform_kernelI37fast_hadamard_transform_kernel_traitsILi32ELi8E6__halfEEv18HadamardParamsBase.num_vgpr, 21
	.set _Z30fast_hadamard_transform_kernelI37fast_hadamard_transform_kernel_traitsILi32ELi8E6__halfEEv18HadamardParamsBase.num_agpr, 0
	.set _Z30fast_hadamard_transform_kernelI37fast_hadamard_transform_kernel_traitsILi32ELi8E6__halfEEv18HadamardParamsBase.numbered_sgpr, 11
	.set _Z30fast_hadamard_transform_kernelI37fast_hadamard_transform_kernel_traitsILi32ELi8E6__halfEEv18HadamardParamsBase.num_named_barrier, 0
	.set _Z30fast_hadamard_transform_kernelI37fast_hadamard_transform_kernel_traitsILi32ELi8E6__halfEEv18HadamardParamsBase.private_seg_size, 0
	.set _Z30fast_hadamard_transform_kernelI37fast_hadamard_transform_kernel_traitsILi32ELi8E6__halfEEv18HadamardParamsBase.uses_vcc, 1
	.set _Z30fast_hadamard_transform_kernelI37fast_hadamard_transform_kernel_traitsILi32ELi8E6__halfEEv18HadamardParamsBase.uses_flat_scratch, 0
	.set _Z30fast_hadamard_transform_kernelI37fast_hadamard_transform_kernel_traitsILi32ELi8E6__halfEEv18HadamardParamsBase.has_dyn_sized_stack, 0
	.set _Z30fast_hadamard_transform_kernelI37fast_hadamard_transform_kernel_traitsILi32ELi8E6__halfEEv18HadamardParamsBase.has_recursion, 0
	.set _Z30fast_hadamard_transform_kernelI37fast_hadamard_transform_kernel_traitsILi32ELi8E6__halfEEv18HadamardParamsBase.has_indirect_call, 0
	.section	.AMDGPU.csdata,"",@progbits
; Kernel info:
; codeLenInByte = 1548
; TotalNumSgprs: 13
; NumVgprs: 21
; ScratchSize: 0
; MemoryBound: 0
; FloatMode: 240
; IeeeMode: 1
; LDSByteSize: 0 bytes/workgroup (compile time only)
; SGPRBlocks: 0
; VGPRBlocks: 2
; NumSGPRsForWavesPerEU: 13
; NumVGPRsForWavesPerEU: 21
; Occupancy: 16
; WaveLimiterHint : 0
; COMPUTE_PGM_RSRC2:SCRATCH_EN: 0
; COMPUTE_PGM_RSRC2:USER_SGPR: 2
; COMPUTE_PGM_RSRC2:TRAP_HANDLER: 0
; COMPUTE_PGM_RSRC2:TGID_X_EN: 1
; COMPUTE_PGM_RSRC2:TGID_Y_EN: 0
; COMPUTE_PGM_RSRC2:TGID_Z_EN: 0
; COMPUTE_PGM_RSRC2:TIDIG_COMP_CNT: 0
	.section	.text._Z30fast_hadamard_transform_kernelI37fast_hadamard_transform_kernel_traitsILi32ELi9E6__halfEEv18HadamardParamsBase,"axG",@progbits,_Z30fast_hadamard_transform_kernelI37fast_hadamard_transform_kernel_traitsILi32ELi9E6__halfEEv18HadamardParamsBase,comdat
	.protected	_Z30fast_hadamard_transform_kernelI37fast_hadamard_transform_kernel_traitsILi32ELi9E6__halfEEv18HadamardParamsBase ; -- Begin function _Z30fast_hadamard_transform_kernelI37fast_hadamard_transform_kernel_traitsILi32ELi9E6__halfEEv18HadamardParamsBase
	.globl	_Z30fast_hadamard_transform_kernelI37fast_hadamard_transform_kernel_traitsILi32ELi9E6__halfEEv18HadamardParamsBase
	.p2align	8
	.type	_Z30fast_hadamard_transform_kernelI37fast_hadamard_transform_kernel_traitsILi32ELi9E6__halfEEv18HadamardParamsBase,@function
_Z30fast_hadamard_transform_kernelI37fast_hadamard_transform_kernel_traitsILi32ELi9E6__halfEEv18HadamardParamsBase: ; @_Z30fast_hadamard_transform_kernelI37fast_hadamard_transform_kernel_traitsILi32ELi9E6__halfEEv18HadamardParamsBase
; %bb.0:
	s_clause 0x3
	s_load_b128 s[8:11], s[0:1], 0x10
	s_load_b32 s2, s[0:1], 0x4
	s_load_b128 s[4:7], s[0:1], 0x28
	s_load_b32 s3, s[0:1], 0x44
	v_dual_mov_b32 v7, 0 :: v_dual_lshlrev_b32 v2, 3, v0
	s_mov_b32 s12, ttmp9
	s_ashr_i32 s13, ttmp9, 31
	v_dual_mov_b32 v3, 0 :: v_dual_mov_b32 v4, 0
	v_dual_mov_b32 v5, 0 :: v_dual_mov_b32 v6, 0
	v_dual_mov_b32 v9, 0 :: v_dual_mov_b32 v8, 0
	v_dual_mov_b32 v10, 0 :: v_dual_lshlrev_b32 v1, 4, v0
	v_mov_b32_e32 v11, 0
	s_wait_kmcnt 0x0
	s_mul_u64 s[8:9], s[8:9], s[12:13]
	v_cmp_gt_u32_e32 vcc_lo, s2, v2
	s_lshl_b64 s[8:9], s[8:9], 1
	s_delay_alu instid0(SALU_CYCLE_1)
	s_add_nc_u64 s[4:5], s[4:5], s[8:9]
	s_and_saveexec_b32 s8, vcc_lo
	s_cbranch_execz .LBB19_2
; %bb.1:
	global_load_b128 v[4:7], v1, s[4:5]
	s_wait_loadcnt 0x0
	v_lshrrev_b32_e32 v2, 16, v4
	v_lshrrev_b32_e32 v9, 16, v5
	;; [unrolled: 1-line block ×4, first 2 shown]
	v_cvt_f32_f16_e32 v10, v4
	v_cvt_f32_f16_e32 v8, v5
	;; [unrolled: 1-line block ×8, first 2 shown]
.LBB19_2:
	s_or_b32 exec_lo, exec_lo, s8
	s_and_b32 s3, 0xffff, s3
	v_dual_mov_b32 v14, 0 :: v_dual_mov_b32 v15, 0
	s_wait_alu 0xfffe
	v_dual_mov_b32 v13, 0 :: v_dual_add_nc_u32 v2, s3, v0
	v_mov_b32_e32 v12, 0
	v_mov_b32_e32 v16, 0
	s_delay_alu instid0(VALU_DEP_3) | instskip(SKIP_1) | instid1(VALU_DEP_2)
	v_dual_mov_b32 v18, 0 :: v_dual_lshlrev_b32 v17, 3, v2
	v_lshlrev_b32_e32 v2, 4, v2
	v_cmp_gt_u32_e64 s2, s2, v17
	v_mov_b32_e32 v17, 0
	s_and_saveexec_b32 s3, s2
	s_cbranch_execz .LBB19_4
; %bb.3:
	global_load_b128 v[17:20], v2, s[4:5]
	s_wait_loadcnt 0x0
	v_lshrrev_b32_e32 v3, 16, v17
	v_lshrrev_b32_e32 v14, 16, v18
	;; [unrolled: 1-line block ×4, first 2 shown]
	v_cvt_f32_f16_e32 v17, v17
	v_cvt_f32_f16_e32 v15, v18
	;; [unrolled: 1-line block ×8, first 2 shown]
.LBB19_4:
	s_wait_alu 0xfffe
	s_or_b32 exec_lo, exec_lo, s3
	v_dual_add_f32 v19, v11, v10 :: v_dual_sub_f32 v10, v10, v11
	v_add_f32_e32 v11, v18, v17
	v_sub_f32_e32 v17, v17, v18
	v_add_f32_e32 v18, v9, v8
	v_sub_f32_e32 v8, v8, v9
	;; [unrolled: 2-line block ×5, first 2 shown]
	v_add_f32_e32 v14, v5, v4
	v_dual_sub_f32 v4, v4, v5 :: v_dual_add_f32 v5, v3, v12
	v_sub_f32_e32 v3, v12, v3
	v_add_f32_e32 v12, v18, v19
	v_dual_sub_f32 v18, v19, v18 :: v_dual_add_f32 v19, v9, v11
	v_dual_add_f32 v20, v8, v10 :: v_dual_sub_f32 v9, v11, v9
	v_sub_f32_e32 v8, v10, v8
	v_mbcnt_lo_u32_b32 v11, -1, 0
	v_dual_add_f32 v10, v15, v17 :: v_dual_sub_f32 v15, v17, v15
	s_load_b32 s5, s[0:1], 0x20
	v_dual_add_f32 v21, v14, v16 :: v_dual_sub_f32 v14, v16, v14
	s_delay_alu instid0(VALU_DEP_3) | instskip(SKIP_1) | instid1(VALU_DEP_3)
	v_xor_b32_e32 v17, 1, v11
	v_dual_add_f32 v16, v5, v7 :: v_dual_sub_f32 v5, v7, v5
	v_add_f32_e32 v22, v21, v12
	v_sub_f32_e32 v12, v12, v21
	s_delay_alu instid0(VALU_DEP_4)
	v_cmp_gt_i32_e64 s0, 32, v17
	s_mul_u64 s[8:9], s[10:11], s[12:13]
	v_and_b32_e32 v37, 8, v0
	v_and_b32_e32 v33, 4, v0
	v_cndmask_b32_e64 v7, v11, v17, s0
	v_dual_add_f32 v17, v4, v6 :: v_dual_sub_f32 v4, v6, v4
	v_dual_add_f32 v6, v3, v13 :: v_dual_sub_f32 v3, v13, v3
	s_delay_alu instid0(VALU_DEP_3) | instskip(SKIP_1) | instid1(VALU_DEP_4)
	v_lshlrev_b32_e32 v7, 2, v7
	v_dual_add_f32 v13, v16, v19 :: v_dual_sub_f32 v16, v19, v16
	v_add_f32_e32 v21, v17, v20
	v_sub_f32_e32 v17, v20, v17
	ds_bpermute_b32 v19, v7, v22
	v_add_f32_e32 v20, v6, v10
	v_dual_sub_f32 v6, v10, v6 :: v_dual_add_f32 v23, v4, v8
	v_add_f32_e32 v10, v14, v18
	v_sub_f32_e32 v14, v18, v14
	v_and_b32_e32 v18, 1, v0
	ds_bpermute_b32 v24, v7, v21
	ds_bpermute_b32 v26, v7, v23
	;; [unrolled: 1-line block ×4, first 2 shown]
	v_cmp_eq_u32_e64 s0, 0, v18
	v_cmp_eq_u32_e64 s3, 0, v33
	v_xor_b32_e32 v33, 8, v11
	s_wait_alu 0xf1ff
	s_delay_alu instid0(VALU_DEP_3)
	v_cndmask_b32_e64 v18, -v22, v22, s0
	v_add_f32_e32 v28, v5, v9
	v_sub_f32_e32 v5, v9, v5
	ds_bpermute_b32 v25, v7, v10
	v_cndmask_b32_e64 v10, -v10, v10, s0
	s_wait_dscnt 0x5
	v_add_f32_e32 v9, v18, v19
	v_cndmask_b32_e64 v18, -v23, v23, s0
	ds_bpermute_b32 v23, v7, v13
	v_cndmask_b32_e64 v13, -v13, v13, s0
	v_sub_f32_e32 v4, v8, v4
	ds_bpermute_b32 v19, v7, v17
	v_cndmask_b32_e64 v17, -v17, v17, s0
	v_cndmask_b32_e64 v12, -v12, v12, s0
	v_cndmask_b32_e64 v16, -v16, v16, s0
	v_cmp_gt_i32_e64 s4, 32, v33
	s_wait_dscnt 0x2
	v_add_f32_e32 v10, v10, v25
	v_xor_b32_e32 v25, 2, v11
	s_wait_dscnt 0x1
	v_add_f32_e32 v13, v13, v23
	ds_bpermute_b32 v22, v7, v4
	v_cndmask_b32_e64 v4, -v4, v4, s0
	v_add_f32_e32 v8, v3, v15
	v_sub_f32_e32 v3, v15, v3
	v_cndmask_b32_e64 v15, -v21, v21, s0
	v_cmp_gt_i32_e64 s1, 32, v25
	ds_bpermute_b32 v21, v7, v14
	s_wait_dscnt 0x2
	v_add_f32_e32 v17, v17, v19
	v_cndmask_b32_e64 v14, -v14, v14, s0
	v_add_f32_e32 v15, v15, v24
	ds_bpermute_b32 v24, v7, v20
	v_cndmask_b32_e64 v20, -v20, v20, s0
	s_wait_alu 0xf1ff
	v_cndmask_b32_e64 v25, v11, v25, s1
	s_wait_dscnt 0x2
	v_add_f32_e32 v19, v4, v22
	v_cndmask_b32_e64 v22, -v28, v28, s0
	s_delay_alu instid0(VALU_DEP_3)
	v_lshlrev_b32_e32 v4, 2, v25
	ds_bpermute_b32 v25, v7, v5
	v_cndmask_b32_e64 v5, -v5, v5, s0
	v_add_f32_e32 v12, v12, v27
	ds_bpermute_b32 v27, v7, v8
	ds_bpermute_b32 v23, v4, v9
	v_cndmask_b32_e64 v8, -v8, v8, s0
	s_wait_dscnt 0x3
	v_add_f32_e32 v20, v20, v24
	v_xor_b32_e32 v24, 4, v11
	s_delay_alu instid0(VALU_DEP_1) | instskip(SKIP_1) | instid1(VALU_DEP_1)
	v_cmp_gt_i32_e64 s1, 32, v24
	s_wait_alu 0xf1ff
	v_cndmask_b32_e64 v24, v11, v24, s1
	v_add_f32_e32 v18, v18, v26
	ds_bpermute_b32 v26, v7, v28
	s_wait_dscnt 0x2
	v_add_f32_e32 v8, v8, v27
	s_wait_dscnt 0x0
	v_add_f32_e32 v22, v22, v26
	v_and_b32_e32 v26, 2, v0
	s_delay_alu instid0(VALU_DEP_1) | instskip(SKIP_1) | instid1(VALU_DEP_1)
	v_cmp_eq_u32_e64 s1, 0, v26
	s_wait_alu 0xf1ff
	v_cndmask_b32_e64 v9, -v9, v9, s1
	v_add_f32_e32 v14, v14, v21
	ds_bpermute_b32 v21, v7, v6
	ds_bpermute_b32 v7, v7, v3
	v_cndmask_b32_e64 v6, -v6, v6, s0
	v_cndmask_b32_e64 v3, -v3, v3, s0
	v_add_f32_e32 v9, v9, v23
	v_add_f32_e32 v23, v5, v25
	v_cmp_eq_u32_e64 s0, 0, v37
	s_wait_dscnt 0x0
	v_add_f32_e32 v7, v3, v7
	ds_bpermute_b32 v5, v4, v10
	ds_bpermute_b32 v30, v4, v13
	v_cndmask_b32_e64 v13, -v13, v13, s1
	v_dual_add_f32 v6, v6, v21 :: v_dual_lshlrev_b32 v21, 2, v24
	v_cndmask_b32_e64 v10, -v10, v10, s1
	ds_bpermute_b32 v3, v4, v15
	ds_bpermute_b32 v25, v4, v18
	v_cndmask_b32_e64 v18, -v18, v18, s1
	ds_bpermute_b32 v24, v21, v9
	v_cndmask_b32_e64 v9, -v9, v9, s3
	v_add_f32_e32 v16, v16, v29
	v_cndmask_b32_e64 v15, -v15, v15, s1
	ds_bpermute_b32 v34, v4, v8
	ds_bpermute_b32 v32, v4, v22
	v_cndmask_b32_e64 v8, -v8, v8, s1
	v_cndmask_b32_e64 v22, -v22, v22, s1
	ds_bpermute_b32 v26, v4, v12
	ds_bpermute_b32 v27, v4, v17
	;; [unrolled: 1-line block ×3, first 2 shown]
	s_wait_dscnt 0x9
	v_add_f32_e32 v5, v10, v5
	ds_bpermute_b32 v31, v4, v20
	v_cndmask_b32_e64 v10, v11, v33, s4
	s_wait_dscnt 0x9
	v_add_f32_e32 v13, v13, v30
	v_cndmask_b32_e64 v20, -v20, v20, s1
	ds_bpermute_b32 v29, v4, v19
	s_wait_dscnt 0x9
	v_add_f32_e32 v3, v15, v3
	ds_bpermute_b32 v36, v4, v6
	ds_bpermute_b32 v33, v21, v13
	s_wait_dscnt 0x9
	v_add_f32_e32 v9, v9, v24
	ds_bpermute_b32 v24, v21, v5
	v_cndmask_b32_e64 v5, -v5, v5, s3
	v_add_f32_e32 v18, v18, v25
	ds_bpermute_b32 v25, v21, v3
	v_cndmask_b32_e64 v3, -v3, v3, s3
	s_wait_dscnt 0xa
	v_add_f32_e32 v8, v8, v34
	v_cndmask_b32_e64 v13, -v13, v13, s3
	ds_bpermute_b32 v35, v4, v16
	ds_bpermute_b32 v38, v4, v7
	v_cndmask_b32_e64 v14, -v14, v14, s1
	v_cndmask_b32_e64 v17, -v17, v17, s1
	s_wait_dscnt 0x7
	v_add_f32_e32 v20, v20, v31
	v_cndmask_b32_e64 v12, -v12, v12, s1
	v_cndmask_b32_e64 v7, -v7, v7, s1
	v_add_f32_e32 v14, v14, v28
	v_cndmask_b32_e64 v6, -v6, v6, s1
	v_cndmask_b32_e64 v16, -v16, v16, s1
	v_add_f32_e32 v17, v17, v27
	s_wait_dscnt 0x4
	v_add_f32_e32 v13, v13, v33
	s_wait_dscnt 0x3
	v_add_f32_e32 v5, v5, v24
	ds_bpermute_b32 v15, v21, v18
	v_cndmask_b32_e64 v18, -v18, v18, s3
	s_wait_dscnt 0x3
	v_dual_add_f32 v3, v3, v25 :: v_dual_lshlrev_b32 v10, 2, v10
	ds_bpermute_b32 v30, v21, v8
	v_cndmask_b32_e64 v8, -v8, v8, s3
	s_wait_dscnt 0x2
	v_add_f32_e32 v7, v7, v38
	s_wait_dscnt 0x1
	v_add_f32_e32 v15, v18, v15
	v_xor_b32_e32 v18, 16, v11
	ds_bpermute_b32 v37, v10, v3
	ds_bpermute_b32 v24, v10, v9
	;; [unrolled: 1-line block ×4, first 2 shown]
	v_cmp_gt_i32_e64 s4, 32, v18
	s_wait_alu 0xf1ff
	v_cndmask_b32_e64 v3, -v3, v3, s0
	s_wait_dscnt 0x4
	v_add_f32_e32 v8, v8, v30
	v_cndmask_b32_e64 v9, -v9, v9, s0
	v_cndmask_b32_e64 v15, -v15, v15, s0
	v_cndmask_b32_e64 v11, v11, v18, s4
	v_add_f32_e32 v22, v22, v32
	ds_bpermute_b32 v32, v21, v20
	v_and_b32_e32 v0, 16, v0
	v_cndmask_b32_e64 v5, -v5, v5, s0
	v_lshlrev_b32_e32 v11, 2, v11
	ds_bpermute_b32 v31, v21, v22
	v_cndmask_b32_e64 v18, -v22, v22, s3
	v_cndmask_b32_e64 v20, -v20, v20, s3
	s_wait_dscnt 0x5
	v_add_f32_e32 v3, v3, v37
	ds_bpermute_b32 v22, v10, v8
	s_wait_dscnt 0x4
	v_add_f32_e32 v5, v5, v34
	s_wait_dscnt 0x3
	v_add_f32_e32 v15, v15, v25
	v_cmp_eq_u32_e64 s4, 0, v0
	v_cndmask_b32_e64 v0, -v8, v8, s0
	v_add_f32_e32 v9, v9, v24
	ds_bpermute_b32 v33, v11, v3
	ds_bpermute_b32 v37, v4, v23
	;; [unrolled: 1-line block ×3, first 2 shown]
	v_cndmask_b32_e64 v8, -v13, v13, s0
	v_cndmask_b32_e64 v23, -v23, v23, s1
	v_add_f32_e32 v12, v12, v26
	ds_bpermute_b32 v26, v21, v17
	v_cndmask_b32_e64 v17, -v17, v17, s3
	s_wait_dscnt 0x5
	v_add_f32_e32 v18, v18, v31
	ds_bpermute_b32 v31, v11, v15
	ds_bpermute_b32 v30, v10, v18
	v_cndmask_b32_e64 v4, -v18, v18, s0
	s_wait_dscnt 0x6
	v_add_f32_e32 v18, v0, v22
	ds_bpermute_b32 v34, v11, v9
	s_wait_alu 0xf1ff
	v_cndmask_b32_e64 v0, -v9, v9, s4
	v_cndmask_b32_e64 v9, -v3, v3, s4
	v_add_f32_e32 v20, v20, v32
	ds_bpermute_b32 v32, v11, v5
	v_cndmask_b32_e64 v5, -v5, v5, s4
	s_wait_dscnt 0x5
	v_add_f32_e32 v8, v8, v25
	ds_bpermute_b32 v25, v21, v14
	ds_bpermute_b32 v24, v10, v20
	v_cndmask_b32_e64 v13, -v20, v20, s0
	v_add_f32_e32 v23, v23, v37
	ds_bpermute_b32 v27, v21, v12
	v_cndmask_b32_e64 v14, -v14, v14, s3
	v_cndmask_b32_e64 v12, -v12, v12, s3
	v_add_f32_e32 v16, v16, v35
	ds_bpermute_b32 v28, v11, v18
	v_cndmask_b32_e64 v18, -v18, v18, s4
	s_wait_dscnt 0x6
	v_add_f32_e32 v20, v4, v30
	v_cndmask_b32_e64 v4, -v15, v15, s4
	ds_bpermute_b32 v30, v21, v23
	ds_bpermute_b32 v15, v11, v8
	s_wait_dscnt 0x6
	v_dual_add_f32 v3, v4, v31 :: v_dual_add_f32 v4, v5, v32
	v_add_f32_e32 v5, v9, v33
	v_cndmask_b32_e64 v9, -v19, v19, s1
	s_wait_dscnt 0x4
	v_dual_add_f32 v0, v0, v34 :: v_dual_add_f32 v13, v13, v24
	v_cndmask_b32_e64 v32, -v8, v8, s4
	ds_bpermute_b32 v19, v11, v20
	v_add_f32_e32 v9, v9, v29
	ds_bpermute_b32 v29, v21, v7
	v_cndmask_b32_e64 v7, -v7, v7, s3
	v_add_f32_e32 v6, v6, v36
	v_cndmask_b32_e64 v20, -v20, v20, s4
	ds_bpermute_b32 v24, v21, v9
	v_cndmask_b32_e64 v9, -v9, v9, s3
	ds_bpermute_b32 v22, v11, v13
	v_cndmask_b32_e64 v13, -v13, v13, s4
	s_wait_dscnt 0x2
	v_add_f32_e32 v7, v7, v29
	ds_bpermute_b32 v31, v21, v6
	v_cndmask_b32_e64 v6, -v6, v6, s3
	s_wait_dscnt 0x2
	v_dual_add_f32 v8, v9, v24 :: v_dual_add_f32 v9, v14, v25
	v_add_f32_e32 v14, v17, v26
	v_cndmask_b32_e64 v17, -v23, v23, s3
	v_add_f32_e32 v12, v12, v27
	ds_bpermute_b32 v21, v21, v16
	ds_bpermute_b32 v24, v10, v9
	;; [unrolled: 1-line block ×3, first 2 shown]
	v_add_f32_e32 v17, v17, v30
	ds_bpermute_b32 v26, v10, v12
	v_cndmask_b32_e64 v16, -v16, v16, s3
	v_cndmask_b32_e64 v9, -v9, v9, s0
	v_cndmask_b32_e64 v14, -v14, v14, s0
	v_cndmask_b32_e64 v12, -v12, v12, s0
	ds_bpermute_b32 v27, v10, v17
	s_wait_dscnt 0x3
	v_add_f32_e32 v24, v9, v24
	s_wait_dscnt 0x2
	v_add_f32_e32 v14, v14, v25
	v_cndmask_b32_e64 v9, -v17, v17, s0
	v_add_f32_e32 v16, v16, v21
	ds_bpermute_b32 v21, v10, v7
	s_wait_dscnt 0x2
	v_add_f32_e32 v25, v12, v26
	ds_bpermute_b32 v23, v10, v8
	v_cndmask_b32_e64 v8, -v8, v8, s0
	v_cndmask_b32_e64 v7, -v7, v7, s0
	v_add_f32_e32 v6, v6, v31
	s_wait_dscnt 0x2
	v_add_f32_e32 v27, v9, v27
	v_add_f32_e32 v9, v20, v19
	ds_bpermute_b32 v26, v11, v14
	ds_bpermute_b32 v31, v11, v25
	;; [unrolled: 1-line block ×3, first 2 shown]
	s_wait_dscnt 0x4
	v_add_f32_e32 v21, v7, v21
	ds_bpermute_b32 v29, v10, v6
	ds_bpermute_b32 v10, v10, v16
	s_wait_dscnt 0x5
	v_add_f32_e32 v23, v8, v23
	v_cndmask_b32_e64 v8, -v16, v16, s0
	v_cndmask_b32_e64 v6, -v6, v6, s0
	ds_bpermute_b32 v33, v11, v21
	s_lshl_b64 s[0:1], s[8:9], 1
	ds_bpermute_b32 v16, v11, v23
	v_cndmask_b32_e64 v7, -v23, v23, s4
	s_wait_alu 0xfffe
	s_add_nc_u64 s[0:1], s[6:7], s[0:1]
	s_wait_dscnt 0x3
	v_add_f32_e32 v29, v6, v29
	ds_bpermute_b32 v17, v11, v24
	s_wait_dscnt 0x3
	v_add_f32_e32 v30, v8, v10
	v_cndmask_b32_e64 v10, -v24, v24, s4
	v_add_f32_e32 v12, v13, v22
	ds_bpermute_b32 v35, v11, v29
	v_cndmask_b32_e64 v13, -v14, v14, s4
	s_wait_dscnt 0x2
	v_add_f32_e32 v7, v7, v16
	ds_bpermute_b32 v36, v11, v30
	v_cndmask_b32_e64 v14, -v25, v25, s4
	s_delay_alu instid0(VALU_DEP_1)
	v_add_f32_e32 v14, v14, v31
	s_wait_dscnt 0x2
	v_dual_add_f32 v11, v10, v17 :: v_dual_add_f32 v10, v13, v26
	v_cndmask_b32_e64 v13, -v21, v21, s4
	v_add_f32_e32 v8, v18, v28
	v_cndmask_b32_e64 v17, -v29, v29, s4
	v_cndmask_b32_e64 v18, -v30, v30, s4
	v_add_f32_e32 v6, v32, v15
	v_cndmask_b32_e64 v15, -v27, v27, s4
	s_delay_alu instid0(VALU_DEP_1)
	v_dual_add_f32 v13, v13, v33 :: v_dual_add_f32 v16, v15, v34
	s_wait_dscnt 0x1
	v_add_f32_e32 v15, v17, v35
	s_wait_dscnt 0x0
	v_add_f32_e32 v17, v18, v36
	s_and_saveexec_b32 s3, vcc_lo
	s_cbranch_execnz .LBB19_7
; %bb.5:
	s_wait_alu 0xfffe
	s_or_b32 exec_lo, exec_lo, s3
	s_and_saveexec_b32 s3, s2
	s_cbranch_execnz .LBB19_8
.LBB19_6:
	s_endpgm
.LBB19_7:
	s_delay_alu instid0(VALU_DEP_1)
	v_dual_add_f32 v18, v11, v16 :: v_dual_add_f32 v19, v14, v17
	v_dual_add_f32 v24, v3, v8 :: v_dual_add_f32 v25, v4, v9
	;; [unrolled: 1-line block ×4, first 2 shown]
	s_wait_kmcnt 0x0
	v_fma_mixlo_f16 v21, s5, v18, 0
	v_fma_mixlo_f16 v20, s5, v19, 0
	;; [unrolled: 1-line block ×4, first 2 shown]
	s_delay_alu instid0(VALU_DEP_4) | instskip(NEXT) | instid1(VALU_DEP_4)
	v_fma_mixhi_f16 v21, s5, v22, 0
	v_fma_mixhi_f16 v20, s5, v23, 0
	s_delay_alu instid0(VALU_DEP_4) | instskip(NEXT) | instid1(VALU_DEP_4)
	v_fma_mixhi_f16 v19, s5, v24, 0
	v_fma_mixhi_f16 v18, s5, v27, 0
	global_store_b128 v1, v[18:21], s[0:1]
	s_wait_alu 0xfffe
	s_or_b32 exec_lo, exec_lo, s3
	s_and_saveexec_b32 s3, s2
	s_cbranch_execz .LBB19_6
.LBB19_8:
	v_dual_sub_f32 v1, v5, v12 :: v_dual_sub_f32 v0, v0, v6
	v_dual_sub_f32 v8, v3, v8 :: v_dual_sub_f32 v3, v4, v9
	;; [unrolled: 1-line block ×3, first 2 shown]
	v_sub_f32_e32 v9, v10, v15
	v_sub_f32_e32 v7, v7, v13
	s_wait_kmcnt 0x0
	s_delay_alu instid0(VALU_DEP_3) | instskip(SKIP_3) | instid1(VALU_DEP_4)
	v_fma_mixlo_f16 v6, s5, v4, 0
	v_fma_mixlo_f16 v5, s5, v5, 0
	;; [unrolled: 1-line block ×4, first 2 shown]
	v_fma_mixhi_f16 v6, s5, v7, 0
	s_delay_alu instid0(VALU_DEP_4) | instskip(NEXT) | instid1(VALU_DEP_4)
	v_fma_mixhi_f16 v5, s5, v9, 0
	v_fma_mixhi_f16 v4, s5, v8, 0
	s_delay_alu instid0(VALU_DEP_4)
	v_fma_mixhi_f16 v3, s5, v1, 0
	global_store_b128 v2, v[3:6], s[0:1]
	s_endpgm
	.section	.rodata,"a",@progbits
	.p2align	6, 0x0
	.amdhsa_kernel _Z30fast_hadamard_transform_kernelI37fast_hadamard_transform_kernel_traitsILi32ELi9E6__halfEEv18HadamardParamsBase
		.amdhsa_group_segment_fixed_size 0
		.amdhsa_private_segment_fixed_size 0
		.amdhsa_kernarg_size 312
		.amdhsa_user_sgpr_count 2
		.amdhsa_user_sgpr_dispatch_ptr 0
		.amdhsa_user_sgpr_queue_ptr 0
		.amdhsa_user_sgpr_kernarg_segment_ptr 1
		.amdhsa_user_sgpr_dispatch_id 0
		.amdhsa_user_sgpr_private_segment_size 0
		.amdhsa_wavefront_size32 1
		.amdhsa_uses_dynamic_stack 0
		.amdhsa_enable_private_segment 0
		.amdhsa_system_sgpr_workgroup_id_x 1
		.amdhsa_system_sgpr_workgroup_id_y 0
		.amdhsa_system_sgpr_workgroup_id_z 0
		.amdhsa_system_sgpr_workgroup_info 0
		.amdhsa_system_vgpr_workitem_id 0
		.amdhsa_next_free_vgpr 39
		.amdhsa_next_free_sgpr 14
		.amdhsa_reserve_vcc 1
		.amdhsa_float_round_mode_32 0
		.amdhsa_float_round_mode_16_64 0
		.amdhsa_float_denorm_mode_32 3
		.amdhsa_float_denorm_mode_16_64 3
		.amdhsa_fp16_overflow 0
		.amdhsa_workgroup_processor_mode 1
		.amdhsa_memory_ordered 1
		.amdhsa_forward_progress 1
		.amdhsa_inst_pref_size 23
		.amdhsa_round_robin_scheduling 0
		.amdhsa_exception_fp_ieee_invalid_op 0
		.amdhsa_exception_fp_denorm_src 0
		.amdhsa_exception_fp_ieee_div_zero 0
		.amdhsa_exception_fp_ieee_overflow 0
		.amdhsa_exception_fp_ieee_underflow 0
		.amdhsa_exception_fp_ieee_inexact 0
		.amdhsa_exception_int_div_zero 0
	.end_amdhsa_kernel
	.section	.text._Z30fast_hadamard_transform_kernelI37fast_hadamard_transform_kernel_traitsILi32ELi9E6__halfEEv18HadamardParamsBase,"axG",@progbits,_Z30fast_hadamard_transform_kernelI37fast_hadamard_transform_kernel_traitsILi32ELi9E6__halfEEv18HadamardParamsBase,comdat
.Lfunc_end19:
	.size	_Z30fast_hadamard_transform_kernelI37fast_hadamard_transform_kernel_traitsILi32ELi9E6__halfEEv18HadamardParamsBase, .Lfunc_end19-_Z30fast_hadamard_transform_kernelI37fast_hadamard_transform_kernel_traitsILi32ELi9E6__halfEEv18HadamardParamsBase
                                        ; -- End function
	.set _Z30fast_hadamard_transform_kernelI37fast_hadamard_transform_kernel_traitsILi32ELi9E6__halfEEv18HadamardParamsBase.num_vgpr, 39
	.set _Z30fast_hadamard_transform_kernelI37fast_hadamard_transform_kernel_traitsILi32ELi9E6__halfEEv18HadamardParamsBase.num_agpr, 0
	.set _Z30fast_hadamard_transform_kernelI37fast_hadamard_transform_kernel_traitsILi32ELi9E6__halfEEv18HadamardParamsBase.numbered_sgpr, 14
	.set _Z30fast_hadamard_transform_kernelI37fast_hadamard_transform_kernel_traitsILi32ELi9E6__halfEEv18HadamardParamsBase.num_named_barrier, 0
	.set _Z30fast_hadamard_transform_kernelI37fast_hadamard_transform_kernel_traitsILi32ELi9E6__halfEEv18HadamardParamsBase.private_seg_size, 0
	.set _Z30fast_hadamard_transform_kernelI37fast_hadamard_transform_kernel_traitsILi32ELi9E6__halfEEv18HadamardParamsBase.uses_vcc, 1
	.set _Z30fast_hadamard_transform_kernelI37fast_hadamard_transform_kernel_traitsILi32ELi9E6__halfEEv18HadamardParamsBase.uses_flat_scratch, 0
	.set _Z30fast_hadamard_transform_kernelI37fast_hadamard_transform_kernel_traitsILi32ELi9E6__halfEEv18HadamardParamsBase.has_dyn_sized_stack, 0
	.set _Z30fast_hadamard_transform_kernelI37fast_hadamard_transform_kernel_traitsILi32ELi9E6__halfEEv18HadamardParamsBase.has_recursion, 0
	.set _Z30fast_hadamard_transform_kernelI37fast_hadamard_transform_kernel_traitsILi32ELi9E6__halfEEv18HadamardParamsBase.has_indirect_call, 0
	.section	.AMDGPU.csdata,"",@progbits
; Kernel info:
; codeLenInByte = 2868
; TotalNumSgprs: 16
; NumVgprs: 39
; ScratchSize: 0
; MemoryBound: 0
; FloatMode: 240
; IeeeMode: 1
; LDSByteSize: 0 bytes/workgroup (compile time only)
; SGPRBlocks: 0
; VGPRBlocks: 4
; NumSGPRsForWavesPerEU: 16
; NumVGPRsForWavesPerEU: 39
; Occupancy: 16
; WaveLimiterHint : 0
; COMPUTE_PGM_RSRC2:SCRATCH_EN: 0
; COMPUTE_PGM_RSRC2:USER_SGPR: 2
; COMPUTE_PGM_RSRC2:TRAP_HANDLER: 0
; COMPUTE_PGM_RSRC2:TGID_X_EN: 1
; COMPUTE_PGM_RSRC2:TGID_Y_EN: 0
; COMPUTE_PGM_RSRC2:TGID_Z_EN: 0
; COMPUTE_PGM_RSRC2:TIDIG_COMP_CNT: 0
	.section	.text._Z30fast_hadamard_transform_kernelI37fast_hadamard_transform_kernel_traitsILi128ELi10E6__halfEEv18HadamardParamsBase,"axG",@progbits,_Z30fast_hadamard_transform_kernelI37fast_hadamard_transform_kernel_traitsILi128ELi10E6__halfEEv18HadamardParamsBase,comdat
	.protected	_Z30fast_hadamard_transform_kernelI37fast_hadamard_transform_kernel_traitsILi128ELi10E6__halfEEv18HadamardParamsBase ; -- Begin function _Z30fast_hadamard_transform_kernelI37fast_hadamard_transform_kernel_traitsILi128ELi10E6__halfEEv18HadamardParamsBase
	.globl	_Z30fast_hadamard_transform_kernelI37fast_hadamard_transform_kernel_traitsILi128ELi10E6__halfEEv18HadamardParamsBase
	.p2align	8
	.type	_Z30fast_hadamard_transform_kernelI37fast_hadamard_transform_kernel_traitsILi128ELi10E6__halfEEv18HadamardParamsBase,@function
_Z30fast_hadamard_transform_kernelI37fast_hadamard_transform_kernel_traitsILi128ELi10E6__halfEEv18HadamardParamsBase: ; @_Z30fast_hadamard_transform_kernelI37fast_hadamard_transform_kernel_traitsILi128ELi10E6__halfEEv18HadamardParamsBase
; %bb.0:
	s_load_b32 s2, s[0:1], 0x4
	v_dual_mov_b32 v9, 0 :: v_dual_lshlrev_b32 v8, 3, v0
	v_dual_mov_b32 v3, 0 :: v_dual_mov_b32 v2, 0
	v_dual_mov_b32 v6, 0 :: v_dual_mov_b32 v7, 0
	;; [unrolled: 1-line block ×3, first 2 shown]
	v_lshlrev_b32_e32 v1, 4, v0
	s_mov_b32 s6, ttmp9
	s_ashr_i32 s7, ttmp9, 31
	s_wait_kmcnt 0x0
	v_cmp_gt_u32_e32 vcc_lo, s2, v8
	v_mov_b32_e32 v8, 0
	s_and_saveexec_b32 s2, vcc_lo
	s_cbranch_execz .LBB20_2
; %bb.1:
	s_clause 0x1
	s_load_b64 s[4:5], s[0:1], 0x10
	s_load_b64 s[8:9], s[0:1], 0x28
	s_wait_kmcnt 0x0
	s_mul_u64 s[4:5], s[4:5], s[6:7]
	s_delay_alu instid0(SALU_CYCLE_1) | instskip(NEXT) | instid1(SALU_CYCLE_1)
	s_lshl_b64 s[4:5], s[4:5], 1
	s_add_nc_u64 s[4:5], s[8:9], s[4:5]
	global_load_b128 v[4:7], v1, s[4:5]
	s_wait_loadcnt 0x0
	v_lshrrev_b32_e32 v3, 16, v4
	v_lshrrev_b32_e32 v10, 16, v5
	;; [unrolled: 1-line block ×4, first 2 shown]
	v_cvt_f32_f16_e32 v8, v4
	v_cvt_f32_f16_e32 v5, v5
	;; [unrolled: 1-line block ×8, first 2 shown]
.LBB20_2:
	s_wait_alu 0xfffe
	s_or_b32 exec_lo, exec_lo, s2
	v_mbcnt_lo_u32_b32 v11, -1, 0
	v_add_f32_e32 v10, v9, v8
	v_sub_f32_e32 v8, v8, v9
	v_add_f32_e32 v9, v7, v5
	v_sub_f32_e32 v5, v5, v7
	v_xor_b32_e32 v12, 1, v11
	v_dual_add_f32 v7, v6, v4 :: v_dual_sub_f32 v4, v4, v6
	s_delay_alu instid0(VALU_DEP_3) | instskip(NEXT) | instid1(VALU_DEP_3)
	v_dual_add_f32 v6, v3, v2 :: v_dual_add_f32 v13, v5, v8
	v_cmp_gt_i32_e64 s2, 32, v12
	v_dual_sub_f32 v2, v2, v3 :: v_dual_add_f32 v3, v9, v10
	s_delay_alu instid0(VALU_DEP_3) | instskip(SKIP_1) | instid1(VALU_DEP_3)
	v_dual_add_f32 v14, v6, v7 :: v_dual_sub_f32 v5, v8, v5
	s_wait_alu 0xf1ff
	v_cndmask_b32_e64 v12, v11, v12, s2
	s_delay_alu instid0(VALU_DEP_3) | instskip(SKIP_2) | instid1(VALU_DEP_4)
	v_dual_add_f32 v15, v2, v4 :: v_dual_sub_f32 v6, v7, v6
	v_sub_f32_e32 v9, v10, v9
	v_dual_add_f32 v10, v14, v3 :: v_dual_sub_f32 v3, v3, v14
	v_lshlrev_b32_e32 v12, 2, v12
	s_delay_alu instid0(VALU_DEP_4) | instskip(NEXT) | instid1(VALU_DEP_4)
	v_dual_add_f32 v16, v15, v13 :: v_dual_sub_f32 v13, v13, v15
	v_dual_sub_f32 v2, v4, v2 :: v_dual_add_f32 v17, v6, v9
	ds_bpermute_b32 v15, v12, v3
	ds_bpermute_b32 v7, v12, v16
	v_and_b32_e32 v8, 1, v0
	ds_bpermute_b32 v4, v12, v10
	ds_bpermute_b32 v19, v12, v13
	v_xor_b32_e32 v20, 2, v11
	v_sub_f32_e32 v6, v9, v6
	v_cmp_eq_u32_e64 s2, 0, v8
	ds_bpermute_b32 v8, v12, v17
	v_xor_b32_e32 v22, 4, v11
	v_cmp_gt_i32_e64 s3, 32, v20
	s_wait_dscnt 0x0
	s_wait_alu 0xf1ff
	v_cndmask_b32_e64 v3, -v3, v3, s2
	v_add_f32_e32 v18, v2, v5
	v_cndmask_b32_e64 v9, -v10, v10, s2
	v_cndmask_b32_e64 v10, -v16, v16, s2
	v_sub_f32_e32 v2, v5, v2
	v_cndmask_b32_e64 v5, v11, v20, s3
	v_cndmask_b32_e64 v13, -v13, v13, s2
	v_cmp_gt_i32_e64 s4, 32, v22
	v_add_f32_e32 v3, v3, v15
	ds_bpermute_b32 v14, v12, v18
	v_add_f32_e32 v7, v10, v7
	v_cndmask_b32_e64 v10, -v18, v18, s2
	v_add_f32_e32 v4, v9, v4
	v_cndmask_b32_e64 v9, -v17, v17, s2
	v_lshlrev_b32_e32 v16, 2, v5
	s_barrier_signal -1
	s_barrier_wait -1
	s_wait_dscnt 0x0
	global_inv scope:SCOPE_SE
	v_dual_add_f32 v8, v9, v8 :: v_dual_add_f32 v9, v10, v14
	v_dual_add_f32 v10, v13, v19 :: v_dual_and_b32 v13, 2, v0
	ds_bpermute_b32 v5, v12, v6
	ds_bpermute_b32 v14, v16, v7
	v_cndmask_b32_e64 v6, -v6, v6, s2
	v_cmp_eq_u32_e64 s3, 0, v13
	s_wait_alu 0xf1ff
	s_delay_alu instid0(VALU_DEP_1) | instskip(SKIP_3) | instid1(VALU_DEP_2)
	v_cndmask_b32_e64 v7, -v7, v7, s3
	s_wait_dscnt 0x1
	v_add_f32_e32 v5, v6, v5
	s_wait_dscnt 0x0
	v_add_f32_e32 v7, v7, v14
	ds_bpermute_b32 v18, v16, v4
	v_cndmask_b32_e64 v6, v11, v22, s4
	v_xor_b32_e32 v22, 8, v11
	ds_bpermute_b32 v13, v16, v5
	v_cndmask_b32_e64 v4, -v4, v4, s3
	v_cndmask_b32_e64 v5, -v5, v5, s3
	ds_bpermute_b32 v20, v16, v3
	v_cmp_gt_i32_e64 s5, 32, v22
	ds_bpermute_b32 v17, v12, v2
	ds_bpermute_b32 v19, v16, v9
	v_lshlrev_b32_e32 v6, 2, v6
	v_cndmask_b32_e64 v3, -v3, v3, s3
	v_cndmask_b32_e64 v2, -v2, v2, s2
	v_and_b32_e32 v14, 4, v0
	v_cndmask_b32_e64 v9, -v9, v9, s3
	s_delay_alu instid0(VALU_DEP_2)
	v_cmp_eq_u32_e64 s4, 0, v14
	s_wait_dscnt 0x3
	v_dual_add_f32 v4, v4, v18 :: v_dual_add_f32 v5, v5, v13
	s_wait_alu 0xf1ff
	v_cndmask_b32_e64 v13, v11, v22, s5
	s_wait_dscnt 0x2
	v_add_f32_e32 v3, v3, v20
	ds_bpermute_b32 v21, v16, v10
	s_wait_dscnt 0x1
	v_dual_add_f32 v2, v2, v17 :: v_dual_add_f32 v9, v9, v19
	v_lshlrev_b32_e32 v13, 2, v13
	ds_bpermute_b32 v15, v16, v8
	v_cndmask_b32_e64 v8, -v8, v8, s3
	ds_bpermute_b32 v17, v16, v2
	v_cndmask_b32_e64 v10, -v10, v10, s3
	v_cndmask_b32_e64 v2, -v2, v2, s3
	s_wait_dscnt 0x2
	s_delay_alu instid0(VALU_DEP_2)
	v_add_f32_e32 v10, v10, v21
	s_wait_dscnt 0x1
	v_add_f32_e32 v8, v8, v15
	ds_bpermute_b32 v15, v6, v7
	v_cndmask_b32_e64 v7, -v7, v7, s4
	s_wait_dscnt 0x0
	s_delay_alu instid0(VALU_DEP_1)
	v_dual_add_f32 v2, v2, v17 :: v_dual_add_f32 v7, v7, v15
	ds_bpermute_b32 v20, v6, v9
	ds_bpermute_b32 v21, v6, v3
	;; [unrolled: 1-line block ×3, first 2 shown]
	v_cndmask_b32_e64 v9, -v9, v9, s4
	v_cndmask_b32_e64 v3, -v3, v3, s4
	ds_bpermute_b32 v17, v6, v5
	v_and_b32_e32 v15, 8, v0
	ds_bpermute_b32 v14, v6, v10
	v_cndmask_b32_e64 v4, -v4, v4, s4
	v_cndmask_b32_e64 v10, -v10, v10, s4
	;; [unrolled: 1-line block ×3, first 2 shown]
	s_wait_dscnt 0x4
	v_add_f32_e32 v9, v9, v20
	ds_bpermute_b32 v19, v6, v8
	ds_bpermute_b32 v6, v6, v2
	s_wait_dscnt 0x5
	v_add_f32_e32 v3, v3, v21
	v_cndmask_b32_e64 v8, -v8, v8, s4
	v_cndmask_b32_e64 v2, -v2, v2, s4
	v_cmp_eq_u32_e64 s4, 0, v15
	ds_bpermute_b32 v15, v13, v9
	ds_bpermute_b32 v21, v13, v3
	s_wait_dscnt 0x5
	v_dual_add_f32 v4, v4, v18 :: v_dual_add_f32 v5, v5, v17
	s_wait_alu 0xf1ff
	v_cndmask_b32_e64 v9, -v9, v9, s4
	s_wait_dscnt 0x4
	v_add_f32_e32 v10, v10, v14
	v_cndmask_b32_e64 v3, -v3, v3, s4
	ds_bpermute_b32 v18, v13, v4
	ds_bpermute_b32 v17, v13, v5
	v_cndmask_b32_e64 v4, -v4, v4, s4
	v_cndmask_b32_e64 v5, -v5, v5, s4
	s_wait_dscnt 0x5
	v_add_f32_e32 v8, v8, v19
	s_wait_dscnt 0x4
	v_add_f32_e32 v2, v2, v6
	ds_bpermute_b32 v19, v13, v7
	v_cndmask_b32_e64 v6, -v7, v7, s4
	v_xor_b32_e32 v7, 16, v11
	s_wait_dscnt 0x4
	v_add_f32_e32 v9, v9, v15
	ds_bpermute_b32 v14, v13, v10
	s_wait_dscnt 0x4
	v_add_f32_e32 v3, v3, v21
	ds_bpermute_b32 v20, v13, v8
	v_and_b32_e32 v21, 16, v0
	ds_bpermute_b32 v13, v13, v2
	v_cmp_gt_i32_e64 s5, 32, v7
	v_cndmask_b32_e64 v2, -v2, v2, s4
	s_wait_dscnt 0x5
	v_add_f32_e32 v4, v4, v18
	v_cndmask_b32_e64 v8, -v8, v8, s4
	v_cndmask_b32_e64 v10, -v10, v10, s4
	s_wait_alu 0xf1ff
	v_cndmask_b32_e64 v7, v11, v7, s5
	v_cmp_eq_u32_e64 s4, 0, v21
	s_delay_alu instid0(VALU_DEP_2)
	v_lshlrev_b32_e32 v7, 2, v7
	s_wait_dscnt 0x3
	v_add_f32_e32 v6, v6, v19
	ds_bpermute_b32 v19, v7, v9
	s_wait_dscnt 0x1
	v_add_f32_e32 v13, v2, v13
	ds_bpermute_b32 v11, v7, v4
	s_wait_alu 0xf1ff
	v_cndmask_b32_e64 v2, -v4, v4, s4
	ds_bpermute_b32 v22, v7, v13
	v_cndmask_b32_e64 v13, -v13, v13, s4
	s_wait_dscnt 0x1
	v_dual_add_f32 v2, v2, v11 :: v_dual_and_b32 v11, 3, v0
	ds_bpermute_b32 v15, v7, v6
	v_cndmask_b32_e64 v4, -v6, v6, s4
	v_cndmask_b32_e64 v6, -v9, v9, s4
	v_add_f32_e32 v8, v8, v20
	ds_bpermute_b32 v20, v7, v3
	v_add_f32_e32 v10, v10, v14
	v_add_f32_e32 v14, v5, v17
	ds_bpermute_b32 v18, v7, v8
	v_cndmask_b32_e64 v5, -v8, v8, s4
	ds_bpermute_b32 v17, v7, v10
	ds_bpermute_b32 v21, v7, v14
	v_cndmask_b32_e64 v7, -v3, v3, s4
	v_lshrrev_b32_e32 v8, 2, v0
	s_wait_dscnt 0x4
	v_add_f32_e32 v3, v4, v15
	v_cndmask_b32_e64 v9, -v10, v10, s4
	v_cndmask_b32_e64 v10, -v14, v14, s4
	v_lshl_or_b32 v14, v11, 5, v8
	s_wait_dscnt 0x2
	v_dual_add_f32 v4, v5, v18 :: v_dual_add_f32 v5, v6, v19
	v_add_f32_e32 v6, v7, v20
	v_lshrrev_b32_e32 v7, 5, v0
	s_wait_dscnt 0x0
	v_add_f32_e32 v8, v10, v21
	v_xor_b32_e32 v10, v14, v11
	s_delay_alu instid0(VALU_DEP_3) | instskip(SKIP_1) | instid1(VALU_DEP_3)
	v_xor_b32_e32 v0, v7, v0
	v_add_f32_e32 v7, v9, v17
	v_lshl_add_u32 v10, v10, 4, 0
	v_add_f32_e32 v9, v13, v22
	s_delay_alu instid0(VALU_DEP_4)
	v_lshl_add_u32 v0, v0, 4, 0
	ds_store_b128 v0, v[2:5]
	ds_store_b128 v0, v[6:9] offset:2048
	s_wait_loadcnt_dscnt 0x0
	s_barrier_signal -1
	s_barrier_wait -1
	global_inv scope:SCOPE_SE
	ds_load_b128 v[2:5], v10
	ds_load_b128 v[6:9], v10 offset:2048
	s_wait_loadcnt_dscnt 0x0
	s_barrier_signal -1
	s_barrier_wait -1
	global_inv scope:SCOPE_SE
	ds_bpermute_b32 v13, v12, v3
	ds_bpermute_b32 v15, v12, v5
	;; [unrolled: 1-line block ×8, first 2 shown]
	v_cndmask_b32_e64 v3, -v3, v3, s2
	v_cndmask_b32_e64 v5, -v5, v5, s2
	;; [unrolled: 1-line block ×8, first 2 shown]
	s_wait_dscnt 0x7
	v_add_f32_e32 v3, v3, v13
	s_wait_dscnt 0x6
	v_add_f32_e32 v5, v5, v15
	s_wait_dscnt 0x4
	v_dual_add_f32 v7, v7, v18 :: v_dual_add_f32 v2, v2, v11
	ds_bpermute_b32 v13, v16, v3
	v_cndmask_b32_e64 v3, -v3, v3, s3
	s_wait_dscnt 0x1
	v_add_f32_e32 v9, v9, v12
	ds_bpermute_b32 v12, v16, v5
	v_cndmask_b32_e64 v5, -v5, v5, s3
	v_add_f32_e32 v6, v6, v17
	ds_bpermute_b32 v17, v16, v7
	v_add_f32_e32 v4, v4, v14
	v_cndmask_b32_e64 v7, -v7, v7, s3
	v_add_f32_e32 v8, v8, v19
	ds_bpermute_b32 v11, v16, v2
	v_cndmask_b32_e64 v2, -v2, v2, s3
	s_wait_dscnt 0x3
	v_add_f32_e32 v3, v3, v13
	ds_bpermute_b32 v14, v16, v4
	v_cndmask_b32_e64 v4, -v4, v4, s3
	s_wait_dscnt 0x3
	;; [unrolled: 4-line block ×3, first 2 shown]
	v_add_f32_e32 v7, v7, v17
	ds_bpermute_b32 v18, v16, v8
	ds_bpermute_b32 v16, v16, v9
	v_cndmask_b32_e64 v8, -v8, v8, s3
	v_cndmask_b32_e64 v9, -v9, v9, s3
	s_wait_dscnt 0x4
	v_add_f32_e32 v2, v2, v11
	s_wait_dscnt 0x3
	v_add_f32_e32 v4, v4, v14
	;; [unrolled: 2-line block ×3, first 2 shown]
	s_wait_dscnt 0x0
	v_dual_add_f32 v8, v8, v18 :: v_dual_add_f32 v9, v9, v16
	ds_store_b128 v10, v[2:5]
	ds_store_b128 v10, v[6:9] offset:2048
	s_wait_loadcnt_dscnt 0x0
	s_barrier_signal -1
	s_barrier_wait -1
	global_inv scope:SCOPE_SE
	s_and_saveexec_b32 s2, vcc_lo
	s_cbranch_execz .LBB20_4
; %bb.3:
	s_load_b96 s[8:10], s[0:1], 0x18
	ds_load_b128 v[2:5], v0 offset:2048
	ds_load_b128 v[6:9], v0
	s_load_b64 s[0:1], s[0:1], 0x30
	s_wait_dscnt 0x1
	s_wait_kmcnt 0x0
	v_fma_mixlo_f16 v13, s10, v4, 0
	v_fma_mixlo_f16 v12, s10, v2, 0
	s_wait_dscnt 0x0
	v_fma_mixlo_f16 v11, s10, v8, 0
	v_fma_mixlo_f16 v10, s10, v6, 0
	s_mul_u64 s[2:3], s[8:9], s[6:7]
	v_fma_mixhi_f16 v13, s10, v5, 0
	v_fma_mixhi_f16 v12, s10, v3, 0
	;; [unrolled: 1-line block ×4, first 2 shown]
	s_wait_alu 0xfffe
	s_lshl_b64 s[2:3], s[2:3], 1
	s_wait_alu 0xfffe
	s_add_nc_u64 s[0:1], s[0:1], s[2:3]
	global_store_b128 v1, v[10:13], s[0:1]
.LBB20_4:
	s_endpgm
	.section	.rodata,"a",@progbits
	.p2align	6, 0x0
	.amdhsa_kernel _Z30fast_hadamard_transform_kernelI37fast_hadamard_transform_kernel_traitsILi128ELi10E6__halfEEv18HadamardParamsBase
		.amdhsa_group_segment_fixed_size 0
		.amdhsa_private_segment_fixed_size 0
		.amdhsa_kernarg_size 56
		.amdhsa_user_sgpr_count 2
		.amdhsa_user_sgpr_dispatch_ptr 0
		.amdhsa_user_sgpr_queue_ptr 0
		.amdhsa_user_sgpr_kernarg_segment_ptr 1
		.amdhsa_user_sgpr_dispatch_id 0
		.amdhsa_user_sgpr_private_segment_size 0
		.amdhsa_wavefront_size32 1
		.amdhsa_uses_dynamic_stack 0
		.amdhsa_enable_private_segment 0
		.amdhsa_system_sgpr_workgroup_id_x 1
		.amdhsa_system_sgpr_workgroup_id_y 0
		.amdhsa_system_sgpr_workgroup_id_z 0
		.amdhsa_system_sgpr_workgroup_info 0
		.amdhsa_system_vgpr_workitem_id 0
		.amdhsa_next_free_vgpr 23
		.amdhsa_next_free_sgpr 11
		.amdhsa_reserve_vcc 1
		.amdhsa_float_round_mode_32 0
		.amdhsa_float_round_mode_16_64 0
		.amdhsa_float_denorm_mode_32 3
		.amdhsa_float_denorm_mode_16_64 3
		.amdhsa_fp16_overflow 0
		.amdhsa_workgroup_processor_mode 1
		.amdhsa_memory_ordered 1
		.amdhsa_forward_progress 1
		.amdhsa_inst_pref_size 17
		.amdhsa_round_robin_scheduling 0
		.amdhsa_exception_fp_ieee_invalid_op 0
		.amdhsa_exception_fp_denorm_src 0
		.amdhsa_exception_fp_ieee_div_zero 0
		.amdhsa_exception_fp_ieee_overflow 0
		.amdhsa_exception_fp_ieee_underflow 0
		.amdhsa_exception_fp_ieee_inexact 0
		.amdhsa_exception_int_div_zero 0
	.end_amdhsa_kernel
	.section	.text._Z30fast_hadamard_transform_kernelI37fast_hadamard_transform_kernel_traitsILi128ELi10E6__halfEEv18HadamardParamsBase,"axG",@progbits,_Z30fast_hadamard_transform_kernelI37fast_hadamard_transform_kernel_traitsILi128ELi10E6__halfEEv18HadamardParamsBase,comdat
.Lfunc_end20:
	.size	_Z30fast_hadamard_transform_kernelI37fast_hadamard_transform_kernel_traitsILi128ELi10E6__halfEEv18HadamardParamsBase, .Lfunc_end20-_Z30fast_hadamard_transform_kernelI37fast_hadamard_transform_kernel_traitsILi128ELi10E6__halfEEv18HadamardParamsBase
                                        ; -- End function
	.set _Z30fast_hadamard_transform_kernelI37fast_hadamard_transform_kernel_traitsILi128ELi10E6__halfEEv18HadamardParamsBase.num_vgpr, 23
	.set _Z30fast_hadamard_transform_kernelI37fast_hadamard_transform_kernel_traitsILi128ELi10E6__halfEEv18HadamardParamsBase.num_agpr, 0
	.set _Z30fast_hadamard_transform_kernelI37fast_hadamard_transform_kernel_traitsILi128ELi10E6__halfEEv18HadamardParamsBase.numbered_sgpr, 11
	.set _Z30fast_hadamard_transform_kernelI37fast_hadamard_transform_kernel_traitsILi128ELi10E6__halfEEv18HadamardParamsBase.num_named_barrier, 0
	.set _Z30fast_hadamard_transform_kernelI37fast_hadamard_transform_kernel_traitsILi128ELi10E6__halfEEv18HadamardParamsBase.private_seg_size, 0
	.set _Z30fast_hadamard_transform_kernelI37fast_hadamard_transform_kernel_traitsILi128ELi10E6__halfEEv18HadamardParamsBase.uses_vcc, 1
	.set _Z30fast_hadamard_transform_kernelI37fast_hadamard_transform_kernel_traitsILi128ELi10E6__halfEEv18HadamardParamsBase.uses_flat_scratch, 0
	.set _Z30fast_hadamard_transform_kernelI37fast_hadamard_transform_kernel_traitsILi128ELi10E6__halfEEv18HadamardParamsBase.has_dyn_sized_stack, 0
	.set _Z30fast_hadamard_transform_kernelI37fast_hadamard_transform_kernel_traitsILi128ELi10E6__halfEEv18HadamardParamsBase.has_recursion, 0
	.set _Z30fast_hadamard_transform_kernelI37fast_hadamard_transform_kernel_traitsILi128ELi10E6__halfEEv18HadamardParamsBase.has_indirect_call, 0
	.section	.AMDGPU.csdata,"",@progbits
; Kernel info:
; codeLenInByte = 2140
; TotalNumSgprs: 13
; NumVgprs: 23
; ScratchSize: 0
; MemoryBound: 0
; FloatMode: 240
; IeeeMode: 1
; LDSByteSize: 0 bytes/workgroup (compile time only)
; SGPRBlocks: 0
; VGPRBlocks: 2
; NumSGPRsForWavesPerEU: 13
; NumVGPRsForWavesPerEU: 23
; Occupancy: 16
; WaveLimiterHint : 0
; COMPUTE_PGM_RSRC2:SCRATCH_EN: 0
; COMPUTE_PGM_RSRC2:USER_SGPR: 2
; COMPUTE_PGM_RSRC2:TRAP_HANDLER: 0
; COMPUTE_PGM_RSRC2:TGID_X_EN: 1
; COMPUTE_PGM_RSRC2:TGID_Y_EN: 0
; COMPUTE_PGM_RSRC2:TGID_Z_EN: 0
; COMPUTE_PGM_RSRC2:TIDIG_COMP_CNT: 0
	.section	.text._Z30fast_hadamard_transform_kernelI37fast_hadamard_transform_kernel_traitsILi256ELi11E6__halfEEv18HadamardParamsBase,"axG",@progbits,_Z30fast_hadamard_transform_kernelI37fast_hadamard_transform_kernel_traitsILi256ELi11E6__halfEEv18HadamardParamsBase,comdat
	.protected	_Z30fast_hadamard_transform_kernelI37fast_hadamard_transform_kernel_traitsILi256ELi11E6__halfEEv18HadamardParamsBase ; -- Begin function _Z30fast_hadamard_transform_kernelI37fast_hadamard_transform_kernel_traitsILi256ELi11E6__halfEEv18HadamardParamsBase
	.globl	_Z30fast_hadamard_transform_kernelI37fast_hadamard_transform_kernel_traitsILi256ELi11E6__halfEEv18HadamardParamsBase
	.p2align	8
	.type	_Z30fast_hadamard_transform_kernelI37fast_hadamard_transform_kernel_traitsILi256ELi11E6__halfEEv18HadamardParamsBase,@function
_Z30fast_hadamard_transform_kernelI37fast_hadamard_transform_kernel_traitsILi256ELi11E6__halfEEv18HadamardParamsBase: ; @_Z30fast_hadamard_transform_kernelI37fast_hadamard_transform_kernel_traitsILi256ELi11E6__halfEEv18HadamardParamsBase
; %bb.0:
	s_load_b32 s2, s[0:1], 0x4
	v_dual_mov_b32 v9, 0 :: v_dual_lshlrev_b32 v8, 3, v0
	v_dual_mov_b32 v3, 0 :: v_dual_mov_b32 v2, 0
	v_dual_mov_b32 v6, 0 :: v_dual_mov_b32 v7, 0
	;; [unrolled: 1-line block ×3, first 2 shown]
	v_lshlrev_b32_e32 v1, 4, v0
	s_mov_b32 s8, ttmp9
	s_ashr_i32 s9, ttmp9, 31
	s_wait_kmcnt 0x0
	v_cmp_gt_u32_e32 vcc_lo, s2, v8
	v_mov_b32_e32 v8, 0
	s_and_saveexec_b32 s2, vcc_lo
	s_cbranch_execz .LBB21_2
; %bb.1:
	s_clause 0x1
	s_load_b64 s[4:5], s[0:1], 0x10
	s_load_b64 s[6:7], s[0:1], 0x28
	s_wait_kmcnt 0x0
	s_mul_u64 s[4:5], s[4:5], s[8:9]
	s_delay_alu instid0(SALU_CYCLE_1) | instskip(NEXT) | instid1(SALU_CYCLE_1)
	s_lshl_b64 s[4:5], s[4:5], 1
	s_add_nc_u64 s[4:5], s[6:7], s[4:5]
	global_load_b128 v[4:7], v1, s[4:5]
	s_wait_loadcnt 0x0
	v_lshrrev_b32_e32 v3, 16, v4
	v_lshrrev_b32_e32 v10, 16, v5
	;; [unrolled: 1-line block ×4, first 2 shown]
	v_cvt_f32_f16_e32 v8, v4
	v_cvt_f32_f16_e32 v5, v5
	;; [unrolled: 1-line block ×8, first 2 shown]
.LBB21_2:
	s_wait_alu 0xfffe
	s_or_b32 exec_lo, exec_lo, s2
	v_mbcnt_lo_u32_b32 v11, -1, 0
	v_add_f32_e32 v10, v9, v8
	v_sub_f32_e32 v8, v8, v9
	v_add_f32_e32 v9, v7, v5
	v_sub_f32_e32 v5, v5, v7
	v_xor_b32_e32 v12, 1, v11
	v_dual_add_f32 v7, v6, v4 :: v_dual_sub_f32 v4, v4, v6
	s_delay_alu instid0(VALU_DEP_3) | instskip(NEXT) | instid1(VALU_DEP_3)
	v_dual_add_f32 v6, v3, v2 :: v_dual_add_f32 v13, v5, v8
	v_cmp_gt_i32_e64 s2, 32, v12
	v_dual_sub_f32 v2, v2, v3 :: v_dual_add_f32 v3, v9, v10
	s_delay_alu instid0(VALU_DEP_3) | instskip(SKIP_1) | instid1(VALU_DEP_3)
	v_dual_add_f32 v14, v6, v7 :: v_dual_sub_f32 v5, v8, v5
	s_wait_alu 0xf1ff
	v_cndmask_b32_e64 v12, v11, v12, s2
	s_delay_alu instid0(VALU_DEP_3) | instskip(SKIP_2) | instid1(VALU_DEP_4)
	v_dual_add_f32 v15, v2, v4 :: v_dual_sub_f32 v6, v7, v6
	v_sub_f32_e32 v9, v10, v9
	v_dual_add_f32 v10, v14, v3 :: v_dual_sub_f32 v3, v3, v14
	v_lshlrev_b32_e32 v12, 2, v12
	s_delay_alu instid0(VALU_DEP_4) | instskip(NEXT) | instid1(VALU_DEP_4)
	v_dual_add_f32 v16, v15, v13 :: v_dual_sub_f32 v13, v13, v15
	v_dual_sub_f32 v2, v4, v2 :: v_dual_add_f32 v17, v6, v9
	ds_bpermute_b32 v15, v12, v3
	ds_bpermute_b32 v7, v12, v16
	v_and_b32_e32 v8, 1, v0
	ds_bpermute_b32 v4, v12, v10
	ds_bpermute_b32 v19, v12, v13
	v_xor_b32_e32 v20, 2, v11
	v_sub_f32_e32 v6, v9, v6
	v_cmp_eq_u32_e64 s2, 0, v8
	ds_bpermute_b32 v8, v12, v17
	v_xor_b32_e32 v22, 4, v11
	v_cmp_gt_i32_e64 s3, 32, v20
	s_wait_dscnt 0x0
	s_wait_alu 0xf1ff
	v_cndmask_b32_e64 v3, -v3, v3, s2
	v_add_f32_e32 v18, v2, v5
	v_cndmask_b32_e64 v9, -v10, v10, s2
	v_cndmask_b32_e64 v10, -v16, v16, s2
	v_sub_f32_e32 v2, v5, v2
	v_cndmask_b32_e64 v5, v11, v20, s3
	v_cndmask_b32_e64 v13, -v13, v13, s2
	v_cmp_gt_i32_e64 s4, 32, v22
	v_add_f32_e32 v3, v3, v15
	ds_bpermute_b32 v14, v12, v18
	v_add_f32_e32 v7, v10, v7
	v_cndmask_b32_e64 v10, -v18, v18, s2
	v_add_f32_e32 v4, v9, v4
	v_cndmask_b32_e64 v9, -v17, v17, s2
	v_lshlrev_b32_e32 v16, 2, v5
	s_barrier_signal -1
	s_barrier_wait -1
	s_wait_dscnt 0x0
	global_inv scope:SCOPE_SE
	v_dual_add_f32 v8, v9, v8 :: v_dual_add_f32 v9, v10, v14
	v_dual_add_f32 v10, v13, v19 :: v_dual_and_b32 v13, 2, v0
	ds_bpermute_b32 v5, v12, v6
	ds_bpermute_b32 v14, v16, v7
	v_cndmask_b32_e64 v6, -v6, v6, s2
	v_cmp_eq_u32_e64 s3, 0, v13
	s_wait_alu 0xf1ff
	s_delay_alu instid0(VALU_DEP_1)
	v_cndmask_b32_e64 v7, -v7, v7, s3
	s_wait_dscnt 0x1
	v_add_f32_e32 v5, v6, v5
	v_cndmask_b32_e64 v6, v11, v22, s4
	s_wait_dscnt 0x0
	v_add_f32_e32 v7, v7, v14
	ds_bpermute_b32 v20, v16, v3
	ds_bpermute_b32 v17, v12, v2
	ds_bpermute_b32 v19, v16, v9
	v_lshlrev_b32_e32 v13, 2, v6
	ds_bpermute_b32 v15, v16, v8
	ds_bpermute_b32 v6, v16, v5
	v_cndmask_b32_e64 v8, -v8, v8, s3
	v_cndmask_b32_e64 v3, -v3, v3, s3
	ds_bpermute_b32 v18, v16, v4
	v_cndmask_b32_e64 v2, -v2, v2, s2
	v_cndmask_b32_e64 v9, -v9, v9, s3
	;; [unrolled: 1-line block ×3, first 2 shown]
	v_and_b32_e32 v14, 4, v0
	v_xor_b32_e32 v22, 8, v11
	v_cndmask_b32_e64 v4, -v4, v4, s3
	s_delay_alu instid0(VALU_DEP_3) | instskip(NEXT) | instid1(VALU_DEP_3)
	v_cmp_eq_u32_e64 s4, 0, v14
	v_cmp_gt_i32_e64 s5, 32, v22
	s_wait_dscnt 0x5
	v_add_f32_e32 v3, v3, v20
	ds_bpermute_b32 v21, v16, v10
	s_wait_dscnt 0x4
	v_dual_add_f32 v2, v2, v17 :: v_dual_add_f32 v9, v9, v19
	s_wait_dscnt 0x2
	v_dual_add_f32 v8, v8, v15 :: v_dual_add_f32 v5, v5, v6
	ds_bpermute_b32 v15, v13, v7
	ds_bpermute_b32 v17, v16, v2
	v_cndmask_b32_e64 v10, -v10, v10, s3
	ds_bpermute_b32 v19, v13, v8
	s_wait_alu 0xf1ff
	v_cndmask_b32_e64 v6, v11, v22, s5
	v_cndmask_b32_e64 v7, -v7, v7, s4
	s_wait_dscnt 0x4
	v_add_f32_e32 v4, v4, v18
	ds_bpermute_b32 v20, v13, v9
	v_cndmask_b32_e64 v8, -v8, v8, s4
	v_cndmask_b32_e64 v9, -v9, v9, s4
	v_lshlrev_b32_e32 v6, 2, v6
	v_cndmask_b32_e64 v2, -v2, v2, s3
	s_wait_dscnt 0x4
	v_add_f32_e32 v10, v10, v21
	ds_bpermute_b32 v21, v13, v3
	v_cndmask_b32_e64 v3, -v3, v3, s4
	s_wait_dscnt 0x3
	v_dual_add_f32 v7, v7, v15 :: v_dual_add_f32 v2, v2, v17
	s_wait_dscnt 0x2
	v_dual_add_f32 v8, v8, v19 :: v_dual_and_b32 v15, 8, v0
	ds_bpermute_b32 v18, v13, v4
	ds_bpermute_b32 v19, v6, v7
	ds_bpermute_b32 v17, v13, v5
	v_cmp_eq_u32_e64 s5, 0, v15
	s_wait_dscnt 0x4
	v_add_f32_e32 v9, v9, v20
	ds_bpermute_b32 v14, v13, v10
	v_cndmask_b32_e64 v4, -v4, v4, s4
	v_cndmask_b32_e64 v10, -v10, v10, s4
	s_wait_alu 0xf1ff
	v_cndmask_b32_e64 v7, -v7, v7, s5
	v_cndmask_b32_e64 v5, -v5, v5, s4
	s_wait_dscnt 0x3
	v_dual_add_f32 v3, v3, v21 :: v_dual_add_f32 v4, v4, v18
	s_wait_dscnt 0x2
	v_add_f32_e32 v7, v7, v19
	ds_bpermute_b32 v21, v6, v3
	ds_bpermute_b32 v18, v13, v2
	ds_bpermute_b32 v15, v6, v9
	s_wait_dscnt 0x3
	v_add_f32_e32 v10, v10, v14
	v_xor_b32_e32 v14, 16, v11
	v_cndmask_b32_e64 v3, -v3, v3, s5
	v_add_f32_e32 v5, v5, v17
	ds_bpermute_b32 v22, v6, v4
	v_cndmask_b32_e64 v2, -v2, v2, s4
	v_cmp_gt_i32_e64 s6, 32, v14
	v_cndmask_b32_e64 v9, -v9, v9, s5
	v_cndmask_b32_e64 v4, -v4, v4, s5
	s_delay_alu instid0(VALU_DEP_3) | instskip(NEXT) | instid1(VALU_DEP_1)
	v_cndmask_b32_e64 v11, v11, v14, s6
	v_lshlrev_b32_e32 v11, 2, v11
	s_wait_dscnt 0x3
	v_add_f32_e32 v3, v3, v21
	ds_bpermute_b32 v20, v6, v8
	s_wait_dscnt 0x2
	v_dual_add_f32 v2, v2, v18 :: v_dual_add_f32 v9, v9, v15
	ds_bpermute_b32 v17, v6, v10
	ds_bpermute_b32 v18, v6, v5
	v_cndmask_b32_e64 v8, -v8, v8, s5
	ds_bpermute_b32 v6, v6, v2
	v_cndmask_b32_e64 v5, -v5, v5, s5
	v_cndmask_b32_e64 v10, -v10, v10, s5
	ds_bpermute_b32 v15, v11, v7
	ds_bpermute_b32 v21, v11, v3
	v_cndmask_b32_e64 v2, -v2, v2, s5
	s_wait_dscnt 0x5
	v_add_f32_e32 v8, v8, v20
	ds_bpermute_b32 v20, v11, v9
	v_add_f32_e32 v4, v4, v22
	v_and_b32_e32 v22, 16, v0
	s_wait_dscnt 0x4
	v_dual_add_f32 v10, v10, v17 :: v_dual_add_f32 v17, v5, v18
	ds_bpermute_b32 v19, v11, v8
	ds_bpermute_b32 v14, v11, v4
	v_cmp_eq_u32_e64 s5, 0, v22
	s_wait_dscnt 0x5
	v_add_f32_e32 v18, v2, v6
	ds_bpermute_b32 v23, v11, v17
	ds_bpermute_b32 v22, v11, v10
	s_wait_alu 0xf1ff
	v_cndmask_b32_e64 v2, -v4, v4, s5
	ds_bpermute_b32 v11, v11, v18
	v_cndmask_b32_e64 v4, -v7, v7, s5
	v_cndmask_b32_e64 v5, -v8, v8, s5
	;; [unrolled: 1-line block ×4, first 2 shown]
	v_lshrrev_b32_e32 v8, 3, v0
	s_wait_dscnt 0x7
	v_add_f32_e32 v3, v4, v15
	v_cndmask_b32_e64 v9, -v10, v10, s5
	v_cndmask_b32_e64 v10, -v17, v17, s5
	;; [unrolled: 1-line block ×3, first 2 shown]
	s_wait_dscnt 0x4
	v_add_f32_e32 v4, v5, v19
	s_wait_dscnt 0x3
	v_add_f32_e32 v2, v2, v14
	v_and_b32_e32 v14, 7, v0
	v_dual_add_f32 v5, v6, v20 :: v_dual_add_f32 v6, v7, v21
	v_lshrrev_b32_e32 v7, 5, v0
	s_delay_alu instid0(VALU_DEP_3) | instskip(SKIP_2) | instid1(VALU_DEP_3)
	v_lshl_or_b32 v17, v14, 5, v8
	s_wait_dscnt 0x2
	v_add_f32_e32 v8, v10, v23
	v_xor_b32_e32 v0, v7, v0
	s_wait_dscnt 0x1
	v_add_f32_e32 v7, v9, v22
	v_xor_b32_e32 v10, v17, v14
	s_wait_dscnt 0x0
	v_add_f32_e32 v9, v15, v11
	v_lshl_add_u32 v0, v0, 4, 0
	ds_store_b128 v0, v[2:5]
	ds_store_b128 v0, v[6:9] offset:4096
	v_lshl_add_u32 v10, v10, 4, 0
	s_wait_loadcnt_dscnt 0x0
	s_barrier_signal -1
	s_barrier_wait -1
	global_inv scope:SCOPE_SE
	ds_load_b128 v[2:5], v10
	ds_load_b128 v[6:9], v10 offset:4096
	s_wait_loadcnt_dscnt 0x0
	s_barrier_signal -1
	s_barrier_wait -1
	global_inv scope:SCOPE_SE
	ds_bpermute_b32 v14, v12, v3
	v_cndmask_b32_e64 v3, -v3, v3, s2
	ds_bpermute_b32 v17, v12, v5
	ds_bpermute_b32 v19, v12, v7
	;; [unrolled: 1-line block ×7, first 2 shown]
	v_cndmask_b32_e64 v5, -v5, v5, s2
	v_cndmask_b32_e64 v7, -v7, v7, s2
	;; [unrolled: 1-line block ×7, first 2 shown]
	s_wait_dscnt 0x7
	v_add_f32_e32 v3, v3, v14
	s_wait_dscnt 0x6
	v_add_f32_e32 v5, v5, v17
	;; [unrolled: 2-line block ×3, first 2 shown]
	ds_bpermute_b32 v14, v16, v3
	v_cndmask_b32_e64 v3, -v3, v3, s3
	s_wait_dscnt 0x1
	v_dual_add_f32 v6, v6, v18 :: v_dual_add_f32 v9, v9, v12
	ds_bpermute_b32 v12, v16, v5
	ds_bpermute_b32 v18, v16, v7
	v_cndmask_b32_e64 v5, -v5, v5, s3
	v_add_f32_e32 v2, v2, v11
	v_cndmask_b32_e64 v7, -v7, v7, s3
	v_add_f32_e32 v4, v4, v15
	ds_bpermute_b32 v17, v16, v6
	s_wait_dscnt 0x3
	v_add_f32_e32 v3, v3, v14
	s_wait_dscnt 0x2
	v_add_f32_e32 v5, v5, v12
	ds_bpermute_b32 v14, v13, v3
	v_cndmask_b32_e64 v3, -v3, v3, s4
	v_add_f32_e32 v8, v8, v20
	ds_bpermute_b32 v11, v16, v2
	s_wait_dscnt 0x3
	v_add_f32_e32 v7, v7, v18
	ds_bpermute_b32 v15, v16, v4
	ds_bpermute_b32 v12, v13, v5
	v_cndmask_b32_e64 v2, -v2, v2, s3
	v_cndmask_b32_e64 v4, -v4, v4, s3
	;; [unrolled: 1-line block ×3, first 2 shown]
	s_wait_dscnt 0x3
	v_add_f32_e32 v3, v3, v14
	ds_bpermute_b32 v19, v16, v8
	ds_bpermute_b32 v16, v16, v9
	v_cndmask_b32_e64 v9, -v9, v9, s3
	v_cndmask_b32_e64 v8, -v8, v8, s3
	s_wait_dscnt 0x2
	v_dual_add_f32 v2, v2, v11 :: v_dual_add_f32 v5, v5, v12
	ds_bpermute_b32 v11, v13, v2
	v_cndmask_b32_e64 v2, -v2, v2, s4
	s_wait_dscnt 0x1
	v_dual_add_f32 v8, v8, v19 :: v_dual_add_f32 v9, v9, v16
	v_cndmask_b32_e64 v6, -v6, v6, s3
	ds_bpermute_b32 v18, v13, v8
	v_add_f32_e32 v6, v6, v17
	ds_bpermute_b32 v17, v13, v7
	v_cndmask_b32_e64 v7, -v7, v7, s4
	v_add_f32_e32 v4, v4, v15
	s_wait_dscnt 0x2
	v_add_f32_e32 v2, v2, v11
	ds_bpermute_b32 v16, v13, v6
	v_cndmask_b32_e64 v6, -v6, v6, s4
	s_wait_dscnt 0x1
	v_add_f32_e32 v7, v7, v17
	ds_bpermute_b32 v15, v13, v4
	ds_bpermute_b32 v13, v13, v9
	v_cndmask_b32_e64 v9, -v9, v9, s4
	v_cndmask_b32_e64 v4, -v4, v4, s4
	s_wait_dscnt 0x2
	v_add_f32_e32 v6, v6, v16
	s_wait_dscnt 0x0
	s_delay_alu instid0(VALU_DEP_2) | instskip(SKIP_1) | instid1(VALU_DEP_1)
	v_dual_add_f32 v4, v4, v15 :: v_dual_add_f32 v9, v9, v13
	v_cndmask_b32_e64 v8, -v8, v8, s4
	v_add_f32_e32 v8, v8, v18
	ds_store_b128 v10, v[2:5]
	ds_store_b128 v10, v[6:9] offset:4096
	s_wait_loadcnt_dscnt 0x0
	s_barrier_signal -1
	s_barrier_wait -1
	global_inv scope:SCOPE_SE
	s_and_saveexec_b32 s2, vcc_lo
	s_cbranch_execz .LBB21_4
; %bb.3:
	s_load_b96 s[4:6], s[0:1], 0x18
	ds_load_b128 v[2:5], v0 offset:4096
	ds_load_b128 v[6:9], v0
	s_load_b64 s[0:1], s[0:1], 0x30
	s_wait_dscnt 0x1
	s_wait_kmcnt 0x0
	v_fma_mixlo_f16 v13, s6, v4, 0
	v_fma_mixlo_f16 v12, s6, v2, 0
	s_wait_dscnt 0x0
	v_fma_mixlo_f16 v11, s6, v8, 0
	v_fma_mixlo_f16 v10, s6, v6, 0
	s_mul_u64 s[2:3], s[4:5], s[8:9]
	v_fma_mixhi_f16 v13, s6, v5, 0
	v_fma_mixhi_f16 v12, s6, v3, 0
	;; [unrolled: 1-line block ×4, first 2 shown]
	s_wait_alu 0xfffe
	s_lshl_b64 s[2:3], s[2:3], 1
	s_wait_alu 0xfffe
	s_add_nc_u64 s[0:1], s[0:1], s[2:3]
	global_store_b128 v1, v[10:13], s[0:1]
.LBB21_4:
	s_endpgm
	.section	.rodata,"a",@progbits
	.p2align	6, 0x0
	.amdhsa_kernel _Z30fast_hadamard_transform_kernelI37fast_hadamard_transform_kernel_traitsILi256ELi11E6__halfEEv18HadamardParamsBase
		.amdhsa_group_segment_fixed_size 0
		.amdhsa_private_segment_fixed_size 0
		.amdhsa_kernarg_size 56
		.amdhsa_user_sgpr_count 2
		.amdhsa_user_sgpr_dispatch_ptr 0
		.amdhsa_user_sgpr_queue_ptr 0
		.amdhsa_user_sgpr_kernarg_segment_ptr 1
		.amdhsa_user_sgpr_dispatch_id 0
		.amdhsa_user_sgpr_private_segment_size 0
		.amdhsa_wavefront_size32 1
		.amdhsa_uses_dynamic_stack 0
		.amdhsa_enable_private_segment 0
		.amdhsa_system_sgpr_workgroup_id_x 1
		.amdhsa_system_sgpr_workgroup_id_y 0
		.amdhsa_system_sgpr_workgroup_id_z 0
		.amdhsa_system_sgpr_workgroup_info 0
		.amdhsa_system_vgpr_workitem_id 0
		.amdhsa_next_free_vgpr 24
		.amdhsa_next_free_sgpr 10
		.amdhsa_reserve_vcc 1
		.amdhsa_float_round_mode_32 0
		.amdhsa_float_round_mode_16_64 0
		.amdhsa_float_denorm_mode_32 3
		.amdhsa_float_denorm_mode_16_64 3
		.amdhsa_fp16_overflow 0
		.amdhsa_workgroup_processor_mode 1
		.amdhsa_memory_ordered 1
		.amdhsa_forward_progress 1
		.amdhsa_inst_pref_size 18
		.amdhsa_round_robin_scheduling 0
		.amdhsa_exception_fp_ieee_invalid_op 0
		.amdhsa_exception_fp_denorm_src 0
		.amdhsa_exception_fp_ieee_div_zero 0
		.amdhsa_exception_fp_ieee_overflow 0
		.amdhsa_exception_fp_ieee_underflow 0
		.amdhsa_exception_fp_ieee_inexact 0
		.amdhsa_exception_int_div_zero 0
	.end_amdhsa_kernel
	.section	.text._Z30fast_hadamard_transform_kernelI37fast_hadamard_transform_kernel_traitsILi256ELi11E6__halfEEv18HadamardParamsBase,"axG",@progbits,_Z30fast_hadamard_transform_kernelI37fast_hadamard_transform_kernel_traitsILi256ELi11E6__halfEEv18HadamardParamsBase,comdat
.Lfunc_end21:
	.size	_Z30fast_hadamard_transform_kernelI37fast_hadamard_transform_kernel_traitsILi256ELi11E6__halfEEv18HadamardParamsBase, .Lfunc_end21-_Z30fast_hadamard_transform_kernelI37fast_hadamard_transform_kernel_traitsILi256ELi11E6__halfEEv18HadamardParamsBase
                                        ; -- End function
	.set _Z30fast_hadamard_transform_kernelI37fast_hadamard_transform_kernel_traitsILi256ELi11E6__halfEEv18HadamardParamsBase.num_vgpr, 24
	.set _Z30fast_hadamard_transform_kernelI37fast_hadamard_transform_kernel_traitsILi256ELi11E6__halfEEv18HadamardParamsBase.num_agpr, 0
	.set _Z30fast_hadamard_transform_kernelI37fast_hadamard_transform_kernel_traitsILi256ELi11E6__halfEEv18HadamardParamsBase.numbered_sgpr, 10
	.set _Z30fast_hadamard_transform_kernelI37fast_hadamard_transform_kernel_traitsILi256ELi11E6__halfEEv18HadamardParamsBase.num_named_barrier, 0
	.set _Z30fast_hadamard_transform_kernelI37fast_hadamard_transform_kernel_traitsILi256ELi11E6__halfEEv18HadamardParamsBase.private_seg_size, 0
	.set _Z30fast_hadamard_transform_kernelI37fast_hadamard_transform_kernel_traitsILi256ELi11E6__halfEEv18HadamardParamsBase.uses_vcc, 1
	.set _Z30fast_hadamard_transform_kernelI37fast_hadamard_transform_kernel_traitsILi256ELi11E6__halfEEv18HadamardParamsBase.uses_flat_scratch, 0
	.set _Z30fast_hadamard_transform_kernelI37fast_hadamard_transform_kernel_traitsILi256ELi11E6__halfEEv18HadamardParamsBase.has_dyn_sized_stack, 0
	.set _Z30fast_hadamard_transform_kernelI37fast_hadamard_transform_kernel_traitsILi256ELi11E6__halfEEv18HadamardParamsBase.has_recursion, 0
	.set _Z30fast_hadamard_transform_kernelI37fast_hadamard_transform_kernel_traitsILi256ELi11E6__halfEEv18HadamardParamsBase.has_indirect_call, 0
	.section	.AMDGPU.csdata,"",@progbits
; Kernel info:
; codeLenInByte = 2304
; TotalNumSgprs: 12
; NumVgprs: 24
; ScratchSize: 0
; MemoryBound: 0
; FloatMode: 240
; IeeeMode: 1
; LDSByteSize: 0 bytes/workgroup (compile time only)
; SGPRBlocks: 0
; VGPRBlocks: 2
; NumSGPRsForWavesPerEU: 12
; NumVGPRsForWavesPerEU: 24
; Occupancy: 16
; WaveLimiterHint : 0
; COMPUTE_PGM_RSRC2:SCRATCH_EN: 0
; COMPUTE_PGM_RSRC2:USER_SGPR: 2
; COMPUTE_PGM_RSRC2:TRAP_HANDLER: 0
; COMPUTE_PGM_RSRC2:TGID_X_EN: 1
; COMPUTE_PGM_RSRC2:TGID_Y_EN: 0
; COMPUTE_PGM_RSRC2:TGID_Z_EN: 0
; COMPUTE_PGM_RSRC2:TIDIG_COMP_CNT: 0
	.section	.text._Z30fast_hadamard_transform_kernelI37fast_hadamard_transform_kernel_traitsILi256ELi12E6__halfEEv18HadamardParamsBase,"axG",@progbits,_Z30fast_hadamard_transform_kernelI37fast_hadamard_transform_kernel_traitsILi256ELi12E6__halfEEv18HadamardParamsBase,comdat
	.protected	_Z30fast_hadamard_transform_kernelI37fast_hadamard_transform_kernel_traitsILi256ELi12E6__halfEEv18HadamardParamsBase ; -- Begin function _Z30fast_hadamard_transform_kernelI37fast_hadamard_transform_kernel_traitsILi256ELi12E6__halfEEv18HadamardParamsBase
	.globl	_Z30fast_hadamard_transform_kernelI37fast_hadamard_transform_kernel_traitsILi256ELi12E6__halfEEv18HadamardParamsBase
	.p2align	8
	.type	_Z30fast_hadamard_transform_kernelI37fast_hadamard_transform_kernel_traitsILi256ELi12E6__halfEEv18HadamardParamsBase,@function
_Z30fast_hadamard_transform_kernelI37fast_hadamard_transform_kernel_traitsILi256ELi12E6__halfEEv18HadamardParamsBase: ; @_Z30fast_hadamard_transform_kernelI37fast_hadamard_transform_kernel_traitsILi256ELi12E6__halfEEv18HadamardParamsBase
; %bb.0:
	s_clause 0x3
	s_load_b128 s[8:11], s[0:1], 0x10
	s_load_b32 s2, s[0:1], 0x4
	s_load_b128 s[12:15], s[0:1], 0x28
	s_load_b32 s3, s[0:1], 0x44
	v_dual_mov_b32 v5, 0 :: v_dual_lshlrev_b32 v8, 3, v0
	s_mov_b32 s16, ttmp9
	s_ashr_i32 s17, ttmp9, 31
	v_dual_mov_b32 v1, 0 :: v_dual_mov_b32 v2, 0
	v_dual_mov_b32 v3, 0 :: v_dual_mov_b32 v4, 0
	;; [unrolled: 1-line block ×3, first 2 shown]
	v_dual_mov_b32 v9, 0 :: v_dual_lshlrev_b32 v16, 4, v0
	s_wait_kmcnt 0x0
	s_mul_u64 s[4:5], s[8:9], s[16:17]
	v_cmp_gt_u32_e32 vcc_lo, s2, v8
	v_mov_b32_e32 v8, 0
	s_lshl_b64 s[4:5], s[4:5], 1
	s_delay_alu instid0(SALU_CYCLE_1)
	s_add_nc_u64 s[4:5], s[12:13], s[4:5]
	s_and_saveexec_b32 s6, vcc_lo
	s_cbranch_execz .LBB22_2
; %bb.1:
	global_load_b128 v[2:5], v16, s[4:5]
	s_wait_loadcnt 0x0
	v_lshrrev_b32_e32 v7, 16, v2
	v_lshrrev_b32_e32 v10, 16, v3
	;; [unrolled: 1-line block ×4, first 2 shown]
	v_cvt_f32_f16_e32 v8, v2
	v_cvt_f32_f16_e32 v6, v3
	v_cvt_f32_f16_e32 v4, v4
	v_cvt_f32_f16_e32 v2, v5
	v_cvt_f32_f16_e32 v9, v7
	v_cvt_f32_f16_e32 v7, v10
	v_cvt_f32_f16_e32 v5, v11
	v_cvt_f32_f16_e32 v3, v12
.LBB22_2:
	s_or_b32 exec_lo, exec_lo, s6
	s_and_b32 s3, 0xffff, s3
	v_dual_mov_b32 v12, 0 :: v_dual_mov_b32 v11, 0
	s_wait_alu 0xfffe
	v_dual_mov_b32 v10, 0 :: v_dual_add_nc_u32 v15, s3, v0
	v_dual_mov_b32 v13, 0 :: v_dual_mov_b32 v18, 0
	s_delay_alu instid0(VALU_DEP_2) | instskip(SKIP_2) | instid1(VALU_DEP_3)
	v_dual_mov_b32 v14, 0 :: v_dual_lshlrev_b32 v19, 3, v15
	v_lshlrev_b32_e32 v17, 4, v15
	v_mov_b32_e32 v15, 0
	v_cmp_gt_u32_e64 s2, s2, v19
	s_and_saveexec_b32 s3, s2
	s_cbranch_execz .LBB22_4
; %bb.3:
	global_load_b128 v[18:21], v17, s[4:5]
	s_wait_loadcnt 0x0
	v_lshrrev_b32_e32 v1, 16, v18
	v_lshrrev_b32_e32 v12, 16, v19
	;; [unrolled: 1-line block ×4, first 2 shown]
	v_cvt_f32_f16_e32 v15, v18
	v_cvt_f32_f16_e32 v13, v19
	;; [unrolled: 1-line block ×8, first 2 shown]
.LBB22_4:
	s_wait_alu 0xfffe
	s_or_b32 exec_lo, exec_lo, s3
	v_mbcnt_lo_u32_b32 v20, -1, 0
	v_dual_add_f32 v19, v9, v8 :: v_dual_sub_f32 v8, v8, v9
	v_add_f32_e32 v9, v18, v15
	v_sub_f32_e32 v15, v15, v18
	s_delay_alu instid0(VALU_DEP_4)
	v_xor_b32_e32 v21, 1, v20
	v_add_f32_e32 v18, v7, v6
	v_sub_f32_e32 v6, v6, v7
	v_add_f32_e32 v7, v14, v13
	v_sub_f32_e32 v13, v13, v14
	;; [unrolled: 2-line block ×4, first 2 shown]
	v_add_f32_e32 v12, v3, v2
	v_dual_sub_f32 v2, v2, v3 :: v_dual_add_f32 v3, v1, v10
	v_sub_f32_e32 v1, v10, v1
	v_cmp_gt_i32_e64 s3, 32, v21
	v_add_f32_e32 v10, v18, v19
	v_sub_f32_e32 v18, v19, v18
	v_add_f32_e32 v19, v7, v9
	v_sub_f32_e32 v7, v9, v7
	v_dual_add_f32 v9, v6, v8 :: v_dual_sub_f32 v6, v8, v6
	v_dual_add_f32 v8, v13, v15 :: v_dual_sub_f32 v13, v15, v13
	;; [unrolled: 1-line block ×6, first 2 shown]
	s_wait_alu 0xf1ff
	v_cndmask_b32_e64 v1, v20, v21, s3
	v_add_f32_e32 v22, v15, v10
	v_sub_f32_e32 v10, v10, v15
	v_dual_add_f32 v15, v14, v19 :: v_dual_sub_f32 v14, v19, v14
	s_delay_alu instid0(VALU_DEP_4)
	v_lshlrev_b32_e32 v1, 2, v1
	v_add_f32_e32 v19, v5, v9
	v_sub_f32_e32 v5, v9, v5
	v_add_f32_e32 v9, v12, v18
	v_dual_add_f32 v21, v4, v8 :: v_dual_add_f32 v26, v2, v6
	v_sub_f32_e32 v4, v8, v4
	v_sub_f32_e32 v12, v18, v12
	ds_bpermute_b32 v8, v1, v22
	v_dual_add_f32 v25, v3, v7 :: v_dual_and_b32 v18, 1, v0
	v_sub_f32_e32 v2, v6, v2
	ds_bpermute_b32 v23, v1, v19
	ds_bpermute_b32 v27, v1, v12
	v_cmp_eq_u32_e64 s3, 0, v18
	ds_bpermute_b32 v18, v1, v10
	ds_bpermute_b32 v28, v1, v2
	s_wait_dscnt 0x0
	s_barrier_signal -1
	s_wait_alu 0xf1ff
	v_cndmask_b32_e64 v6, -v22, v22, s3
	v_cndmask_b32_e64 v10, -v10, v10, s3
	v_sub_f32_e32 v3, v7, v3
	ds_bpermute_b32 v7, v1, v26
	v_cndmask_b32_e64 v19, -v19, v19, s3
	v_cndmask_b32_e64 v12, -v12, v12, s3
	v_add_f32_e32 v29, v11, v13
	v_cndmask_b32_e64 v2, -v2, v2, s3
	ds_bpermute_b32 v22, v1, v5
	v_add_f32_e32 v6, v6, v8
	ds_bpermute_b32 v24, v1, v9
	v_cndmask_b32_e64 v9, -v9, v9, s3
	v_cndmask_b32_e64 v5, -v5, v5, s3
	v_add_f32_e32 v8, v19, v23
	ds_bpermute_b32 v23, v1, v21
	ds_bpermute_b32 v19, v1, v15
	v_add_f32_e32 v10, v10, v18
	v_xor_b32_e32 v18, 2, v20
	v_add_f32_e32 v12, v12, v27
	v_cndmask_b32_e64 v21, -v21, v21, s3
	s_barrier_wait -1
	s_wait_dscnt 0x0
	global_inv scope:SCOPE_SE
	v_cmp_gt_i32_e64 s4, 32, v18
	s_delay_alu instid0(VALU_DEP_1)
	v_cndmask_b32_e64 v18, v20, v18, s4
	v_sub_f32_e32 v11, v13, v11
	v_cndmask_b32_e64 v13, -v26, v26, s3
	v_add_f32_e32 v9, v9, v24
	ds_bpermute_b32 v24, v1, v25
	ds_bpermute_b32 v26, v1, v4
	v_cndmask_b32_e64 v4, -v4, v4, s3
	v_add_f32_e32 v7, v13, v7
	v_add_f32_e32 v13, v2, v28
	v_cndmask_b32_e64 v2, -v15, v15, s3
	ds_bpermute_b32 v15, v1, v29
	v_cndmask_b32_e64 v25, -v25, v25, s3
	v_add_f32_e32 v21, v21, v23
	v_dual_add_f32 v19, v2, v19 :: v_dual_lshlrev_b32 v2, 2, v18
	ds_bpermute_b32 v18, v1, v3
	v_cndmask_b32_e64 v3, -v3, v3, s3
	ds_bpermute_b32 v27, v2, v6
	ds_bpermute_b32 v28, v2, v8
	;; [unrolled: 1-line block ×3, first 2 shown]
	s_wait_dscnt 0x6
	v_add_f32_e32 v23, v25, v24
	v_cndmask_b32_e64 v24, -v29, v29, s3
	ds_bpermute_b32 v25, v1, v11
	s_wait_dscnt 0x6
	v_add_f32_e32 v4, v4, v26
	ds_bpermute_b32 v29, v2, v9
	v_cndmask_b32_e64 v11, -v11, v11, s3
	s_wait_dscnt 0x6
	v_dual_add_f32 v15, v24, v15 :: v_dual_and_b32 v24, 2, v0
	ds_bpermute_b32 v31, v2, v13
	v_cmp_eq_u32_e64 s4, 0, v24
	ds_bpermute_b32 v24, v2, v10
	s_wait_dscnt 0x7
	v_add_f32_e32 v18, v3, v18
	s_wait_alu 0xf1ff
	v_cndmask_b32_e64 v6, -v6, v6, s4
	v_add_f32_e32 v5, v5, v22
	ds_bpermute_b32 v22, v1, v14
	v_cndmask_b32_e64 v14, -v14, v14, s3
	v_cndmask_b32_e64 v3, -v7, v7, s4
	s_wait_dscnt 0x7
	v_add_f32_e32 v6, v6, v27
	ds_bpermute_b32 v26, v2, v5
	v_cndmask_b32_e64 v8, -v8, v8, s4
	v_cndmask_b32_e64 v5, -v5, v5, s4
	s_wait_dscnt 0x5
	v_add_f32_e32 v11, v11, v25
	v_cndmask_b32_e64 v9, -v9, v9, s4
	v_cndmask_b32_e64 v12, -v12, v12, s4
	v_add_f32_e32 v8, v8, v28
	ds_bpermute_b32 v28, v2, v4
	v_cndmask_b32_e64 v4, -v4, v4, s4
	s_wait_dscnt 0x5
	v_dual_add_f32 v9, v9, v29 :: v_dual_add_f32 v12, v12, v30
	v_cndmask_b32_e64 v13, -v13, v13, s4
	s_wait_dscnt 0x2
	v_add_f32_e32 v14, v14, v22
	ds_bpermute_b32 v22, v2, v7
	v_cndmask_b32_e64 v7, -v10, v10, s4
	ds_bpermute_b32 v10, v2, v19
	s_wait_dscnt 0x3
	v_add_f32_e32 v5, v5, v26
	ds_bpermute_b32 v26, v2, v14
	v_cndmask_b32_e64 v14, -v14, v14, s4
	v_add_f32_e32 v7, v7, v24
	v_xor_b32_e32 v24, 4, v20
	ds_bpermute_b32 v25, v2, v21
	v_cndmask_b32_e64 v21, -v21, v21, s4
	s_wait_dscnt 0x4
	v_add_f32_e32 v4, v4, v28
	v_cmp_gt_i32_e64 s5, 32, v24
	s_wait_alu 0xf1ff
	s_delay_alu instid0(VALU_DEP_1)
	v_cndmask_b32_e64 v24, v20, v24, s5
	s_wait_dscnt 0x3
	v_add_f32_e32 v22, v3, v22
	v_cndmask_b32_e64 v3, -v19, v19, s4
	ds_bpermute_b32 v27, v2, v23
	v_cndmask_b32_e64 v23, -v23, v23, s4
	s_wait_dscnt 0x2
	v_add_f32_e32 v14, v14, v26
	v_add_f32_e32 v10, v3, v10
	ds_bpermute_b32 v19, v2, v15
	v_lshlrev_b32_e32 v3, 2, v24
	v_cndmask_b32_e64 v15, -v15, v15, s4
	ds_bpermute_b32 v24, v2, v18
	v_cndmask_b32_e64 v18, -v18, v18, s4
	v_add_f32_e32 v13, v13, v31
	ds_bpermute_b32 v31, v3, v12
	s_wait_dscnt 0x2
	v_add_f32_e32 v15, v15, v19
	v_and_b32_e32 v19, 4, v0
	s_wait_dscnt 0x1
	v_add_f32_e32 v18, v18, v24
	s_delay_alu instid0(VALU_DEP_2) | instskip(SKIP_1) | instid1(VALU_DEP_1)
	v_cmp_eq_u32_e64 s5, 0, v19
	s_wait_alu 0xf1ff
	v_cndmask_b32_e64 v12, -v12, v12, s5
	s_wait_dscnt 0x0
	s_delay_alu instid0(VALU_DEP_1)
	v_add_f32_e32 v12, v12, v31
	ds_bpermute_b32 v29, v3, v8
	ds_bpermute_b32 v26, v3, v7
	v_cndmask_b32_e64 v8, -v8, v8, s5
	v_add_f32_e32 v23, v23, v27
	ds_bpermute_b32 v27, v3, v6
	v_cndmask_b32_e64 v6, -v6, v6, s5
	v_add_f32_e32 v21, v21, v25
	ds_bpermute_b32 v25, v2, v11
	v_cndmask_b32_e64 v7, -v7, v7, s5
	ds_bpermute_b32 v24, v3, v10
	ds_bpermute_b32 v30, v3, v9
	;; [unrolled: 1-line block ×3, first 2 shown]
	v_cndmask_b32_e64 v11, -v11, v11, s4
	v_cndmask_b32_e64 v10, -v10, v10, s5
	v_and_b32_e32 v31, 8, v0
	ds_bpermute_b32 v19, v3, v22
	v_cndmask_b32_e64 v9, -v9, v9, s5
	v_cndmask_b32_e64 v5, -v5, v5, s5
	;; [unrolled: 1-line block ×3, first 2 shown]
	ds_bpermute_b32 v32, v3, v13
	s_wait_dscnt 0x7
	v_dual_add_f32 v8, v8, v29 :: v_dual_add_f32 v7, v7, v26
	v_xor_b32_e32 v26, 8, v20
	ds_bpermute_b32 v29, v3, v4
	s_wait_dscnt 0x7
	v_add_f32_e32 v6, v6, v27
	ds_bpermute_b32 v27, v3, v23
	v_cndmask_b32_e64 v23, -v23, v23, s5
	v_cmp_gt_i32_e64 s6, 32, v26
	v_cndmask_b32_e64 v4, -v4, v4, s5
	s_wait_dscnt 0x6
	v_add_f32_e32 v10, v10, v24
	v_cndmask_b32_e64 v13, -v13, v13, s5
	v_cndmask_b32_e64 v26, v20, v26, s6
	v_add_f32_e32 v11, v11, v25
	ds_bpermute_b32 v25, v3, v21
	v_cmp_eq_u32_e64 s6, 0, v31
	v_cndmask_b32_e64 v21, -v21, v21, s5
	v_lshlrev_b32_e32 v24, 2, v26
	ds_bpermute_b32 v26, v3, v11
	v_cndmask_b32_e64 v11, -v11, v11, s5
	s_wait_dscnt 0x2
	v_dual_add_f32 v4, v4, v29 :: v_dual_add_f32 v23, v23, v27
	ds_bpermute_b32 v27, v24, v6
	s_wait_alu 0xf1ff
	v_cndmask_b32_e64 v6, -v6, v6, s6
	v_add_f32_e32 v5, v5, v28
	ds_bpermute_b32 v28, v3, v14
	v_cndmask_b32_e64 v14, -v14, v14, s5
	v_add_f32_e32 v9, v9, v30
	ds_bpermute_b32 v30, v24, v8
	v_cndmask_b32_e64 v8, -v8, v8, s6
	s_wait_dscnt 0x4
	v_add_f32_e32 v21, v21, v25
	ds_bpermute_b32 v25, v3, v18
	v_add_f32_e32 v19, v22, v19
	ds_bpermute_b32 v22, v3, v15
	v_cndmask_b32_e64 v18, -v18, v18, s5
	v_cndmask_b32_e64 v15, -v15, v15, s5
	s_wait_dscnt 0x4
	v_dual_add_f32 v11, v11, v26 :: v_dual_add_f32 v6, v6, v27
	ds_bpermute_b32 v31, v24, v5
	v_cndmask_b32_e64 v5, -v5, v5, s6
	s_wait_dscnt 0x4
	v_add_f32_e32 v14, v14, v28
	s_wait_dscnt 0x3
	v_add_f32_e32 v8, v8, v30
	ds_bpermute_b32 v28, v24, v19
	v_cndmask_b32_e64 v19, -v19, v19, s6
	s_wait_dscnt 0x3
	v_add_f32_e32 v18, v18, v25
	ds_bpermute_b32 v25, v24, v10
	ds_bpermute_b32 v30, v24, v4
	v_cndmask_b32_e64 v4, -v4, v4, s6
	s_wait_dscnt 0x4
	v_add_f32_e32 v15, v15, v22
	ds_bpermute_b32 v22, v24, v9
	v_cndmask_b32_e64 v9, -v9, v9, s6
	ds_bpermute_b32 v29, v24, v7
	v_cndmask_b32_e64 v7, -v7, v7, s6
	s_wait_dscnt 0x5
	v_add_f32_e32 v26, v5, v31
	v_cndmask_b32_e64 v5, -v10, v10, s6
	ds_bpermute_b32 v27, v24, v15
	v_cndmask_b32_e64 v15, -v15, v15, s6
	s_wait_dscnt 0x5
	v_add_f32_e32 v19, v19, v28
	v_xor_b32_e32 v28, 16, v20
	s_wait_dscnt 0x4
	v_add_f32_e32 v25, v5, v25
	s_delay_alu instid0(VALU_DEP_2)
	v_cmp_gt_i32_e64 s7, 32, v28
	s_wait_dscnt 0x2
	v_add_f32_e32 v9, v9, v22
	s_wait_dscnt 0x1
	v_add_f32_e32 v7, v7, v29
	ds_bpermute_b32 v29, v24, v14
	s_wait_alu 0xf1ff
	v_cndmask_b32_e64 v5, v20, v28, s7
	v_add_f32_e32 v13, v13, v32
	ds_bpermute_b32 v32, v24, v12
	v_cndmask_b32_e64 v12, -v12, v12, s6
	v_cndmask_b32_e64 v14, -v14, v14, s6
	s_wait_dscnt 0x1
	s_delay_alu instid0(VALU_DEP_1)
	v_add_f32_e32 v14, v14, v29
	s_wait_dscnt 0x0
	v_add_f32_e32 v12, v12, v32
	ds_bpermute_b32 v22, v24, v21
	v_cndmask_b32_e64 v21, -v21, v21, s6
	s_wait_dscnt 0x0
	s_delay_alu instid0(VALU_DEP_1)
	v_add_f32_e32 v20, v21, v22
	v_lshlrev_b32_e32 v22, 2, v5
	ds_bpermute_b32 v33, v24, v13
	ds_bpermute_b32 v5, v24, v18
	;; [unrolled: 1-line block ×3, first 2 shown]
	v_cndmask_b32_e64 v21, -v23, v23, s6
	ds_bpermute_b32 v28, v22, v6
	ds_bpermute_b32 v23, v24, v11
	v_and_b32_e32 v24, 16, v0
	v_cndmask_b32_e64 v13, -v13, v13, s6
	ds_bpermute_b32 v31, v22, v8
	ds_bpermute_b32 v29, v22, v12
	v_cmp_eq_u32_e64 s7, 0, v24
	v_add_f32_e32 v24, v4, v30
	v_cndmask_b32_e64 v4, -v18, v18, s6
	s_wait_alu 0xf1ff
	s_delay_alu instid0(VALU_DEP_3)
	v_cndmask_b32_e64 v6, -v6, v6, s7
	v_cndmask_b32_e64 v8, -v8, v8, s7
	;; [unrolled: 1-line block ×3, first 2 shown]
	s_wait_dscnt 0x6
	v_add_f32_e32 v13, v13, v33
	s_wait_dscnt 0x5
	v_add_f32_e32 v33, v4, v5
	;; [unrolled: 2-line block ×3, first 2 shown]
	v_cndmask_b32_e64 v10, -v11, v11, s6
	s_wait_dscnt 0x3
	v_add_f32_e32 v4, v6, v28
	ds_bpermute_b32 v32, v22, v9
	v_cndmask_b32_e64 v9, -v9, v9, s7
	ds_bpermute_b32 v11, v22, v19
	s_wait_dscnt 0x3
	v_add_f32_e32 v5, v8, v31
	v_cndmask_b32_e64 v8, -v19, v19, s7
	ds_bpermute_b32 v19, v22, v25
	s_load_b32 s6, s[0:1], 0x20
	s_mul_u64 s[0:1], s[10:11], s[16:17]
	s_delay_alu instid0(SALU_CYCLE_1) | instskip(NEXT) | instid1(SALU_CYCLE_1)
	s_lshl_b64 s[0:1], s[0:1], 1
	s_add_nc_u64 s[0:1], s[14:15], s[0:1]
	s_wait_dscnt 0x2
	v_add_f32_e32 v6, v9, v32
	ds_bpermute_b32 v18, v22, v7
	v_cndmask_b32_e64 v9, -v7, v7, s7
	v_add_f32_e32 v15, v15, v27
	ds_bpermute_b32 v27, v22, v26
	ds_bpermute_b32 v32, v22, v14
	v_add_f32_e32 v23, v10, v23
	v_cndmask_b32_e64 v10, -v26, v26, s7
	s_wait_dscnt 0x4
	v_add_f32_e32 v7, v8, v11
	ds_bpermute_b32 v26, v22, v20
	s_wait_dscnt 0x3
	v_add_f32_e32 v8, v9, v18
	ds_bpermute_b32 v31, v22, v15
	v_cndmask_b32_e64 v15, -v15, v15, s7
	s_wait_dscnt 0x3
	v_dual_add_f32 v9, v10, v27 :: v_dual_add_f32 v10, v12, v29
	v_cndmask_b32_e64 v12, -v25, v25, s7
	ds_bpermute_b32 v28, v22, v21
	v_cndmask_b32_e64 v18, -v21, v21, s7
	ds_bpermute_b32 v25, v22, v24
	v_cndmask_b32_e64 v21, -v24, v24, s7
	v_add_f32_e32 v12, v12, v19
	ds_bpermute_b32 v30, v22, v13
	v_cndmask_b32_e64 v13, -v13, v13, s7
	v_lshrrev_b32_e32 v19, 5, v0
	s_wait_dscnt 0x3
	v_add_f32_e32 v15, v15, v31
	s_wait_dscnt 0x0
	v_add_f32_e32 v11, v13, v30
	v_cndmask_b32_e64 v13, -v20, v20, s7
	v_cndmask_b32_e64 v20, -v14, v14, s7
	s_delay_alu instid0(VALU_DEP_2) | instskip(NEXT) | instid1(VALU_DEP_2)
	v_dual_add_f32 v14, v18, v28 :: v_dual_add_f32 v13, v13, v26
	v_add_f32_e32 v18, v20, v32
	v_and_b32_e32 v26, 7, v0
	ds_bpermute_b32 v27, v22, v33
	ds_bpermute_b32 v22, v22, v23
	v_lshrrev_b32_e32 v20, 3, v0
	v_cndmask_b32_e64 v23, -v23, v23, s7
	v_xor_b32_e32 v0, v19, v0
	v_add_f32_e32 v19, v21, v25
	v_cndmask_b32_e64 v24, -v33, v33, s7
	v_lshl_or_b32 v28, v26, 5, v20
	s_wait_dscnt 0x0
	s_delay_alu instid0(VALU_DEP_2) | instskip(SKIP_1) | instid1(VALU_DEP_3)
	v_dual_add_f32 v20, v24, v27 :: v_dual_add_f32 v21, v23, v22
	v_lshl_add_u32 v22, v0, 4, 0
	v_xor_b32_e32 v0, v28, v26
	ds_store_b128 v22, v[4:7]
	ds_store_b128 v22, v[8:11] offset:4096
	ds_store_b128 v22, v[12:15] offset:8192
	;; [unrolled: 1-line block ×3, first 2 shown]
	v_lshl_add_u32 v23, v0, 4, 0
	s_wait_loadcnt_dscnt 0x0
	s_barrier_signal -1
	s_barrier_wait -1
	global_inv scope:SCOPE_SE
	ds_load_b128 v[4:7], v23
	ds_load_b128 v[8:11], v23 offset:4096
	ds_load_b128 v[12:15], v23 offset:8192
	ds_load_b128 v[18:21], v23 offset:12288
	s_wait_loadcnt_dscnt 0x0
	s_barrier_signal -1
	s_barrier_wait -1
	global_inv scope:SCOPE_SE
	ds_bpermute_b32 v0, v1, v4
	ds_bpermute_b32 v24, v1, v5
	;; [unrolled: 1-line block ×4, first 2 shown]
	v_cndmask_b32_e64 v4, -v4, v4, s3
	v_cndmask_b32_e64 v5, -v5, v5, s3
	;; [unrolled: 1-line block ×3, first 2 shown]
	ds_bpermute_b32 v27, v1, v8
	ds_bpermute_b32 v28, v1, v9
	;; [unrolled: 1-line block ×6, first 2 shown]
	v_cndmask_b32_e64 v15, -v15, v15, s3
	v_cndmask_b32_e64 v18, -v18, v18, s3
	s_wait_dscnt 0x9
	v_add_f32_e32 v0, v4, v0
	s_wait_dscnt 0x7
	v_dual_add_f32 v4, v5, v24 :: v_dual_add_f32 v5, v6, v25
	v_cndmask_b32_e64 v6, -v7, v7, s3
	v_cndmask_b32_e64 v7, -v8, v8, s3
	;; [unrolled: 1-line block ×5, first 2 shown]
	ds_bpermute_b32 v11, v1, v12
	ds_bpermute_b32 v24, v1, v13
	;; [unrolled: 1-line block ×3, first 2 shown]
	s_wait_dscnt 0x9
	v_add_f32_e32 v6, v6, v26
	ds_bpermute_b32 v26, v1, v19
	v_cndmask_b32_e64 v12, -v12, v12, s3
	v_cndmask_b32_e64 v13, -v13, v13, s3
	;; [unrolled: 1-line block ×3, first 2 shown]
	s_wait_dscnt 0x7
	v_dual_add_f32 v8, v8, v28 :: v_dual_add_f32 v9, v9, v29
	ds_bpermute_b32 v28, v2, v0
	ds_bpermute_b32 v29, v2, v4
	v_cndmask_b32_e64 v4, -v4, v4, s4
	v_cndmask_b32_e64 v0, -v0, v0, s4
	s_wait_dscnt 0x8
	v_add_f32_e32 v10, v10, v30
	ds_bpermute_b32 v30, v2, v8
	s_wait_dscnt 0x5
	v_dual_add_f32 v11, v12, v11 :: v_dual_add_f32 v12, v13, v24
	s_wait_dscnt 0x4
	v_dual_add_f32 v13, v14, v25 :: v_dual_add_f32 v14, v15, v31
	v_add_f32_e32 v15, v18, v32
	v_cndmask_b32_e64 v18, -v19, v19, s3
	v_add_f32_e32 v7, v7, v27
	ds_bpermute_b32 v27, v1, v20
	ds_bpermute_b32 v1, v1, v21
	v_cndmask_b32_e64 v19, -v20, v20, s3
	s_wait_dscnt 0x5
	v_add_f32_e32 v18, v18, v26
	ds_bpermute_b32 v25, v2, v7
	v_cndmask_b32_e64 v20, -v21, v21, s3
	ds_bpermute_b32 v24, v2, v6
	s_wait_dscnt 0x6
	v_add_f32_e32 v0, v0, v28
	ds_bpermute_b32 v21, v2, v5
	ds_bpermute_b32 v31, v2, v9
	;; [unrolled: 1-line block ×3, first 2 shown]
	s_wait_dscnt 0x5
	v_add_f32_e32 v1, v20, v1
	v_add_f32_e32 v20, v4, v29
	v_cndmask_b32_e64 v4, -v5, v5, s4
	v_cndmask_b32_e64 v5, -v6, v6, s4
	;; [unrolled: 1-line block ×5, first 2 shown]
	ds_bpermute_b32 v9, v2, v10
	s_wait_dscnt 0x3
	v_add_f32_e32 v21, v4, v21
	v_add_f32_e32 v6, v6, v25
	ds_bpermute_b32 v26, v2, v11
	v_cndmask_b32_e64 v4, -v10, v10, s4
	v_cndmask_b32_e64 v10, -v11, v11, s4
	v_add_f32_e32 v19, v19, v27
	ds_bpermute_b32 v27, v2, v12
	ds_bpermute_b32 v29, v2, v14
	v_cndmask_b32_e64 v11, -v12, v12, s4
	v_cndmask_b32_e64 v12, -v13, v13, s4
	;; [unrolled: 1-line block ×3, first 2 shown]
	ds_bpermute_b32 v14, v2, v15
	s_wait_dscnt 0x6
	v_add_f32_e32 v8, v8, v31
	s_wait_dscnt 0x5
	v_add_f32_e32 v12, v12, v28
	ds_bpermute_b32 v28, v3, v6
	s_wait_dscnt 0x5
	v_add_f32_e32 v9, v4, v9
	v_cndmask_b32_e64 v4, -v15, v15, s4
	v_add_f32_e32 v5, v5, v24
	ds_bpermute_b32 v24, v2, v18
	s_wait_dscnt 0x5
	v_add_f32_e32 v10, v10, v26
	ds_bpermute_b32 v25, v2, v19
	ds_bpermute_b32 v2, v2, v1
	v_cndmask_b32_e64 v15, -v18, v18, s4
	v_cndmask_b32_e64 v18, -v19, v19, s4
	v_add_f32_e32 v7, v7, v30
	ds_bpermute_b32 v30, v3, v0
	v_cndmask_b32_e64 v1, -v1, v1, s4
	v_cndmask_b32_e64 v0, -v0, v0, s5
	s_wait_dscnt 0x5
	v_dual_add_f32 v11, v11, v27 :: v_dual_add_f32 v14, v4, v14
	ds_bpermute_b32 v27, v3, v5
	ds_bpermute_b32 v19, v3, v20
	;; [unrolled: 1-line block ×4, first 2 shown]
	s_wait_dscnt 0x6
	v_add_f32_e32 v18, v18, v25
	ds_bpermute_b32 v25, v3, v8
	s_wait_dscnt 0x6
	v_dual_add_f32 v15, v15, v24 :: v_dual_add_f32 v24, v1, v2
	ds_bpermute_b32 v26, v3, v21
	s_wait_dscnt 0x6
	v_add_f32_e32 v4, v0, v30
	v_cndmask_b32_e64 v0, -v20, v20, s5
	v_cndmask_b32_e64 v20, -v6, v6, s5
	v_add_f32_e32 v13, v13, v29
	ds_bpermute_b32 v29, v3, v7
	v_cndmask_b32_e64 v2, -v5, v5, s5
	v_cndmask_b32_e64 v1, -v21, v21, s5
	;; [unrolled: 1-line block ×3, first 2 shown]
	ds_bpermute_b32 v32, v3, v11
	s_wait_dscnt 0x7
	v_add_f32_e32 v7, v2, v27
	v_cndmask_b32_e64 v2, -v8, v8, s5
	v_cndmask_b32_e64 v8, -v10, v10, s5
	;; [unrolled: 1-line block ×3, first 2 shown]
	s_wait_dscnt 0x6
	v_add_f32_e32 v5, v0, v19
	v_add_f32_e32 v0, v20, v28
	ds_bpermute_b32 v19, v3, v13
	ds_bpermute_b32 v20, v3, v14
	ds_bpermute_b32 v27, v3, v24
	s_wait_dscnt 0x5
	v_add_f32_e32 v6, v1, v26
	ds_bpermute_b32 v30, v3, v9
	ds_bpermute_b32 v26, v3, v18
	v_add_f32_e32 v2, v2, v25
	v_cndmask_b32_e64 v12, -v14, v14, s5
	s_wait_dscnt 0x6
	v_dual_add_f32 v1, v21, v29 :: v_dual_add_f32 v8, v8, v31
	ds_bpermute_b32 v21, v3, v15
	v_cndmask_b32_e64 v3, -v9, v9, s5
	v_cndmask_b32_e64 v9, -v11, v11, s5
	;; [unrolled: 1-line block ×6, first 2 shown]
	s_wait_dscnt 0x6
	v_dual_add_f32 v9, v9, v32 :: v_dual_add_f32 v10, v10, v33
	s_wait_dscnt 0x4
	v_dual_add_f32 v11, v11, v19 :: v_dual_add_f32 v12, v12, v20
	s_wait_dscnt 0x3
	v_add_f32_e32 v15, v15, v27
	s_wait_dscnt 0x2
	v_add_f32_e32 v3, v3, v30
	s_wait_dscnt 0x0
	v_dual_add_f32 v14, v14, v26 :: v_dual_add_f32 v13, v13, v21
	ds_store_b128 v23, v[4:7]
	ds_store_b128 v23, v[0:3] offset:4096
	ds_store_b128 v23, v[8:11] offset:8192
	ds_store_b128 v23, v[12:15] offset:12288
	s_wait_loadcnt_dscnt 0x0
	s_barrier_signal -1
	s_barrier_wait -1
	global_inv scope:SCOPE_SE
	ds_load_b128 v[0:3], v22
	ds_load_b128 v[4:7], v22 offset:4096
	ds_load_b128 v[12:15], v22 offset:8192
	ds_load_b128 v[8:11], v22 offset:12288
	s_and_saveexec_b32 s3, vcc_lo
	s_cbranch_execnz .LBB22_7
; %bb.5:
	s_wait_alu 0xfffe
	s_or_b32 exec_lo, exec_lo, s3
	s_and_saveexec_b32 s3, s2
	s_cbranch_execnz .LBB22_8
.LBB22_6:
	s_endpgm
.LBB22_7:
	s_wait_dscnt 0x0
	v_dual_add_f32 v18, v6, v10 :: v_dual_add_f32 v19, v4, v8
	v_dual_add_f32 v24, v3, v15 :: v_dual_add_f32 v25, v2, v14
	v_dual_add_f32 v26, v0, v12 :: v_dual_add_f32 v27, v1, v13
	v_dual_add_f32 v22, v7, v11 :: v_dual_add_f32 v23, v5, v9
	s_wait_kmcnt 0x0
	v_fma_mixlo_f16 v21, s6, v18, 0
	v_fma_mixlo_f16 v20, s6, v19, 0
	;; [unrolled: 1-line block ×4, first 2 shown]
	s_delay_alu instid0(VALU_DEP_4) | instskip(NEXT) | instid1(VALU_DEP_4)
	v_fma_mixhi_f16 v21, s6, v22, 0
	v_fma_mixhi_f16 v20, s6, v23, 0
	s_delay_alu instid0(VALU_DEP_4) | instskip(NEXT) | instid1(VALU_DEP_4)
	v_fma_mixhi_f16 v19, s6, v24, 0
	v_fma_mixhi_f16 v18, s6, v27, 0
	global_store_b128 v16, v[18:21], s[0:1]
	s_wait_alu 0xfffe
	s_or_b32 exec_lo, exec_lo, s3
	s_and_saveexec_b32 s3, s2
	s_cbranch_execz .LBB22_6
.LBB22_8:
	s_wait_dscnt 0x1
	v_dual_sub_f32 v13, v1, v13 :: v_dual_sub_f32 v0, v0, v12
	s_wait_dscnt 0x0
	v_dual_sub_f32 v12, v3, v15 :: v_dual_sub_f32 v1, v6, v10
	v_dual_sub_f32 v4, v4, v8 :: v_dual_sub_f32 v5, v5, v9
	;; [unrolled: 1-line block ×3, first 2 shown]
	s_wait_kmcnt 0x0
	s_delay_alu instid0(VALU_DEP_3) | instskip(NEXT) | instid1(VALU_DEP_3)
	v_fma_mixlo_f16 v3, s6, v1, 0
	v_fma_mixlo_f16 v2, s6, v4, 0
	;; [unrolled: 1-line block ×4, first 2 shown]
	s_delay_alu instid0(VALU_DEP_4) | instskip(NEXT) | instid1(VALU_DEP_4)
	v_fma_mixhi_f16 v3, s6, v7, 0
	v_fma_mixhi_f16 v2, s6, v5, 0
	s_delay_alu instid0(VALU_DEP_4) | instskip(NEXT) | instid1(VALU_DEP_4)
	v_fma_mixhi_f16 v0, s6, v13, 0
	v_fma_mixhi_f16 v1, s6, v12, 0
	global_store_b128 v17, v[0:3], s[0:1]
	s_endpgm
	.section	.rodata,"a",@progbits
	.p2align	6, 0x0
	.amdhsa_kernel _Z30fast_hadamard_transform_kernelI37fast_hadamard_transform_kernel_traitsILi256ELi12E6__halfEEv18HadamardParamsBase
		.amdhsa_group_segment_fixed_size 0
		.amdhsa_private_segment_fixed_size 0
		.amdhsa_kernarg_size 312
		.amdhsa_user_sgpr_count 2
		.amdhsa_user_sgpr_dispatch_ptr 0
		.amdhsa_user_sgpr_queue_ptr 0
		.amdhsa_user_sgpr_kernarg_segment_ptr 1
		.amdhsa_user_sgpr_dispatch_id 0
		.amdhsa_user_sgpr_private_segment_size 0
		.amdhsa_wavefront_size32 1
		.amdhsa_uses_dynamic_stack 0
		.amdhsa_enable_private_segment 0
		.amdhsa_system_sgpr_workgroup_id_x 1
		.amdhsa_system_sgpr_workgroup_id_y 0
		.amdhsa_system_sgpr_workgroup_id_z 0
		.amdhsa_system_sgpr_workgroup_info 0
		.amdhsa_system_vgpr_workitem_id 0
		.amdhsa_next_free_vgpr 34
		.amdhsa_next_free_sgpr 18
		.amdhsa_reserve_vcc 1
		.amdhsa_float_round_mode_32 0
		.amdhsa_float_round_mode_16_64 0
		.amdhsa_float_denorm_mode_32 3
		.amdhsa_float_denorm_mode_16_64 3
		.amdhsa_fp16_overflow 0
		.amdhsa_workgroup_processor_mode 1
		.amdhsa_memory_ordered 1
		.amdhsa_forward_progress 1
		.amdhsa_inst_pref_size 34
		.amdhsa_round_robin_scheduling 0
		.amdhsa_exception_fp_ieee_invalid_op 0
		.amdhsa_exception_fp_denorm_src 0
		.amdhsa_exception_fp_ieee_div_zero 0
		.amdhsa_exception_fp_ieee_overflow 0
		.amdhsa_exception_fp_ieee_underflow 0
		.amdhsa_exception_fp_ieee_inexact 0
		.amdhsa_exception_int_div_zero 0
	.end_amdhsa_kernel
	.section	.text._Z30fast_hadamard_transform_kernelI37fast_hadamard_transform_kernel_traitsILi256ELi12E6__halfEEv18HadamardParamsBase,"axG",@progbits,_Z30fast_hadamard_transform_kernelI37fast_hadamard_transform_kernel_traitsILi256ELi12E6__halfEEv18HadamardParamsBase,comdat
.Lfunc_end22:
	.size	_Z30fast_hadamard_transform_kernelI37fast_hadamard_transform_kernel_traitsILi256ELi12E6__halfEEv18HadamardParamsBase, .Lfunc_end22-_Z30fast_hadamard_transform_kernelI37fast_hadamard_transform_kernel_traitsILi256ELi12E6__halfEEv18HadamardParamsBase
                                        ; -- End function
	.set _Z30fast_hadamard_transform_kernelI37fast_hadamard_transform_kernel_traitsILi256ELi12E6__halfEEv18HadamardParamsBase.num_vgpr, 34
	.set _Z30fast_hadamard_transform_kernelI37fast_hadamard_transform_kernel_traitsILi256ELi12E6__halfEEv18HadamardParamsBase.num_agpr, 0
	.set _Z30fast_hadamard_transform_kernelI37fast_hadamard_transform_kernel_traitsILi256ELi12E6__halfEEv18HadamardParamsBase.numbered_sgpr, 18
	.set _Z30fast_hadamard_transform_kernelI37fast_hadamard_transform_kernel_traitsILi256ELi12E6__halfEEv18HadamardParamsBase.num_named_barrier, 0
	.set _Z30fast_hadamard_transform_kernelI37fast_hadamard_transform_kernel_traitsILi256ELi12E6__halfEEv18HadamardParamsBase.private_seg_size, 0
	.set _Z30fast_hadamard_transform_kernelI37fast_hadamard_transform_kernel_traitsILi256ELi12E6__halfEEv18HadamardParamsBase.uses_vcc, 1
	.set _Z30fast_hadamard_transform_kernelI37fast_hadamard_transform_kernel_traitsILi256ELi12E6__halfEEv18HadamardParamsBase.uses_flat_scratch, 0
	.set _Z30fast_hadamard_transform_kernelI37fast_hadamard_transform_kernel_traitsILi256ELi12E6__halfEEv18HadamardParamsBase.has_dyn_sized_stack, 0
	.set _Z30fast_hadamard_transform_kernelI37fast_hadamard_transform_kernel_traitsILi256ELi12E6__halfEEv18HadamardParamsBase.has_recursion, 0
	.set _Z30fast_hadamard_transform_kernelI37fast_hadamard_transform_kernel_traitsILi256ELi12E6__halfEEv18HadamardParamsBase.has_indirect_call, 0
	.section	.AMDGPU.csdata,"",@progbits
; Kernel info:
; codeLenInByte = 4244
; TotalNumSgprs: 20
; NumVgprs: 34
; ScratchSize: 0
; MemoryBound: 0
; FloatMode: 240
; IeeeMode: 1
; LDSByteSize: 0 bytes/workgroup (compile time only)
; SGPRBlocks: 0
; VGPRBlocks: 4
; NumSGPRsForWavesPerEU: 20
; NumVGPRsForWavesPerEU: 34
; Occupancy: 16
; WaveLimiterHint : 0
; COMPUTE_PGM_RSRC2:SCRATCH_EN: 0
; COMPUTE_PGM_RSRC2:USER_SGPR: 2
; COMPUTE_PGM_RSRC2:TRAP_HANDLER: 0
; COMPUTE_PGM_RSRC2:TGID_X_EN: 1
; COMPUTE_PGM_RSRC2:TGID_Y_EN: 0
; COMPUTE_PGM_RSRC2:TGID_Z_EN: 0
; COMPUTE_PGM_RSRC2:TIDIG_COMP_CNT: 0
	.section	.text._Z30fast_hadamard_transform_kernelI37fast_hadamard_transform_kernel_traitsILi256ELi13E6__halfEEv18HadamardParamsBase,"axG",@progbits,_Z30fast_hadamard_transform_kernelI37fast_hadamard_transform_kernel_traitsILi256ELi13E6__halfEEv18HadamardParamsBase,comdat
	.protected	_Z30fast_hadamard_transform_kernelI37fast_hadamard_transform_kernel_traitsILi256ELi13E6__halfEEv18HadamardParamsBase ; -- Begin function _Z30fast_hadamard_transform_kernelI37fast_hadamard_transform_kernel_traitsILi256ELi13E6__halfEEv18HadamardParamsBase
	.globl	_Z30fast_hadamard_transform_kernelI37fast_hadamard_transform_kernel_traitsILi256ELi13E6__halfEEv18HadamardParamsBase
	.p2align	8
	.type	_Z30fast_hadamard_transform_kernelI37fast_hadamard_transform_kernel_traitsILi256ELi13E6__halfEEv18HadamardParamsBase,@function
_Z30fast_hadamard_transform_kernelI37fast_hadamard_transform_kernel_traitsILi256ELi13E6__halfEEv18HadamardParamsBase: ; @_Z30fast_hadamard_transform_kernelI37fast_hadamard_transform_kernel_traitsILi256ELi13E6__halfEEv18HadamardParamsBase
; %bb.0:
	s_clause 0x3
	s_load_b128 s[12:15], s[0:1], 0x10
	s_load_b32 s4, s[0:1], 0x4
	s_load_b128 s[8:11], s[0:1], 0x28
	s_load_b32 s2, s[0:1], 0x44
	v_dual_mov_b32 v5, 0 :: v_dual_lshlrev_b32 v8, 3, v0
	s_mov_b32 s16, ttmp9
	s_ashr_i32 s17, ttmp9, 31
	v_dual_mov_b32 v1, 0 :: v_dual_mov_b32 v2, 0
	v_dual_mov_b32 v3, 0 :: v_dual_mov_b32 v4, 0
	;; [unrolled: 1-line block ×3, first 2 shown]
	v_dual_mov_b32 v9, 0 :: v_dual_lshlrev_b32 v32, 4, v0
	s_wait_kmcnt 0x0
	s_mul_u64 s[6:7], s[12:13], s[16:17]
	v_cmp_gt_u32_e32 vcc_lo, s4, v8
	v_mov_b32_e32 v8, 0
	s_lshl_b64 s[6:7], s[6:7], 1
	s_delay_alu instid0(SALU_CYCLE_1)
	s_add_nc_u64 s[6:7], s[8:9], s[6:7]
	s_and_saveexec_b32 s3, vcc_lo
	s_cbranch_execz .LBB23_2
; %bb.1:
	global_load_b128 v[2:5], v32, s[6:7]
	s_wait_loadcnt 0x0
	v_lshrrev_b32_e32 v7, 16, v2
	v_lshrrev_b32_e32 v10, 16, v3
	;; [unrolled: 1-line block ×4, first 2 shown]
	v_cvt_f32_f16_e32 v8, v2
	v_cvt_f32_f16_e32 v6, v3
	;; [unrolled: 1-line block ×8, first 2 shown]
.LBB23_2:
	s_or_b32 exec_lo, exec_lo, s3
	s_and_b32 s5, 0xffff, s2
	v_dual_mov_b32 v12, 0 :: v_dual_mov_b32 v11, 0
	s_wait_alu 0xfffe
	v_dual_mov_b32 v10, 0 :: v_dual_add_nc_u32 v17, s5, v0
	v_dual_mov_b32 v13, 0 :: v_dual_mov_b32 v16, 0
	s_delay_alu instid0(VALU_DEP_2) | instskip(SKIP_1) | instid1(VALU_DEP_2)
	v_dual_mov_b32 v14, 0 :: v_dual_lshlrev_b32 v15, 3, v17
	v_lshlrev_b32_e32 v33, 4, v17
	v_cmp_gt_u32_e64 s2, s4, v15
	v_mov_b32_e32 v15, 0
	s_and_saveexec_b32 s3, s2
	s_cbranch_execz .LBB23_4
; %bb.3:
	global_load_b128 v[18:21], v33, s[6:7]
	s_wait_loadcnt 0x0
	v_lshrrev_b32_e32 v1, 16, v18
	v_lshrrev_b32_e32 v12, 16, v19
	;; [unrolled: 1-line block ×4, first 2 shown]
	v_cvt_f32_f16_e32 v15, v18
	v_cvt_f32_f16_e32 v13, v19
	;; [unrolled: 1-line block ×8, first 2 shown]
.LBB23_4:
	s_or_b32 exec_lo, exec_lo, s3
	v_dual_mov_b32 v17, 0 :: v_dual_add_nc_u32 v26, s5, v17
	v_mov_b32_e32 v21, 0
	v_dual_mov_b32 v19, 0 :: v_dual_mov_b32 v18, 0
	s_delay_alu instid0(VALU_DEP_3) | instskip(SKIP_3) | instid1(VALU_DEP_4)
	v_lshlrev_b32_e32 v24, 3, v26
	v_dual_mov_b32 v20, 0 :: v_dual_mov_b32 v23, 0
	v_dual_mov_b32 v22, 0 :: v_dual_mov_b32 v25, 0
	v_lshlrev_b32_e32 v34, 4, v26
	v_cmp_gt_u32_e64 s3, s4, v24
	v_mov_b32_e32 v24, 0
	s_and_saveexec_b32 s8, s3
	s_cbranch_execz .LBB23_6
; %bb.5:
	global_load_b128 v[18:21], v34, s[6:7]
	s_wait_loadcnt 0x0
	v_lshrrev_b32_e32 v23, 16, v18
	v_lshrrev_b32_e32 v27, 16, v19
	;; [unrolled: 1-line block ×4, first 2 shown]
	v_cvt_f32_f16_e32 v24, v18
	v_cvt_f32_f16_e32 v22, v19
	;; [unrolled: 1-line block ×8, first 2 shown]
.LBB23_6:
	s_or_b32 exec_lo, exec_lo, s8
	v_dual_mov_b32 v26, 0 :: v_dual_add_nc_u32 v31, s5, v26
	v_dual_mov_b32 v28, 0 :: v_dual_mov_b32 v27, 0
	v_dual_mov_b32 v29, 0 :: v_dual_mov_b32 v36, 0
	s_delay_alu instid0(VALU_DEP_3) | instskip(SKIP_2) | instid1(VALU_DEP_3)
	v_dual_mov_b32 v30, 0 :: v_dual_lshlrev_b32 v37, 3, v31
	v_lshlrev_b32_e32 v35, 4, v31
	v_mov_b32_e32 v31, 0
	v_cmp_gt_u32_e64 s4, s4, v37
	s_and_saveexec_b32 s5, s4
	s_cbranch_execz .LBB23_8
; %bb.7:
	global_load_b128 v[36:39], v35, s[6:7]
	s_wait_loadcnt 0x0
	v_lshrrev_b32_e32 v17, 16, v36
	v_lshrrev_b32_e32 v28, 16, v37
	;; [unrolled: 1-line block ×4, first 2 shown]
	v_cvt_f32_f16_e32 v31, v36
	v_cvt_f32_f16_e32 v29, v37
	;; [unrolled: 1-line block ×8, first 2 shown]
.LBB23_8:
	s_wait_alu 0xfffe
	s_or_b32 exec_lo, exec_lo, s5
	v_dual_add_f32 v37, v9, v8 :: v_dual_sub_f32 v8, v8, v9
	v_add_f32_e32 v9, v16, v15
	v_sub_f32_e32 v15, v15, v16
	v_add_f32_e32 v16, v25, v24
	v_sub_f32_e32 v24, v24, v25
	;; [unrolled: 2-line block ×11, first 2 shown]
	v_add_f32_e32 v28, v3, v2
	v_dual_sub_f32 v2, v2, v3 :: v_dual_add_f32 v3, v1, v10
	v_dual_sub_f32 v1, v10, v1 :: v_dual_add_f32 v10, v19, v18
	;; [unrolled: 1-line block ×3, first 2 shown]
	v_sub_f32_e32 v17, v26, v17
	v_add_f32_e32 v26, v36, v37
	v_dual_sub_f32 v36, v37, v36 :: v_dual_add_f32 v37, v7, v9
	v_sub_f32_e32 v7, v9, v7
	v_dual_add_f32 v9, v14, v16 :: v_dual_sub_f32 v14, v16, v14
	v_dual_add_f32 v16, v23, v25 :: v_dual_sub_f32 v23, v25, v23
	;; [unrolled: 1-line block ×16, first 2 shown]
	v_add_f32_e32 v37, v5, v9
	v_sub_f32_e32 v5, v9, v5
	v_add_f32_e32 v9, v12, v16
	v_sub_f32_e32 v12, v16, v12
	;; [unrolled: 2-line block ×3, first 2 shown]
	v_dual_add_f32 v25, v4, v8 :: v_dual_add_f32 v38, v1, v15
	v_sub_f32_e32 v8, v8, v4
	v_mbcnt_lo_u32_b32 v4, -1, 0
	v_sub_f32_e32 v15, v15, v1
	v_add_f32_e32 v39, v20, v24
	v_sub_f32_e32 v20, v24, v20
	v_add_f32_e32 v24, v28, v36
	v_xor_b32_e32 v1, 1, v4
	v_sub_f32_e32 v28, v36, v28
	v_add_f32_e32 v36, v3, v7
	v_sub_f32_e32 v3, v7, v3
	v_add_f32_e32 v7, v10, v14
	v_cmp_gt_i32_e64 s5, 32, v1
	v_sub_f32_e32 v10, v14, v10
	v_add_f32_e32 v14, v19, v23
	v_sub_f32_e32 v19, v23, v19
	v_add_f32_e32 v23, v2, v6
	v_sub_f32_e32 v2, v6, v2
	v_dual_add_f32 v6, v11, v13 :: v_dual_sub_f32 v11, v13, v11
	v_and_b32_e32 v13, 1, v0
	s_wait_alu 0xf1ff
	v_cndmask_b32_e64 v1, v4, v1, s5
	v_add_f32_e32 v45, v18, v22
	s_barrier_signal -1
	v_cmp_eq_u32_e64 s5, 0, v13
	v_dual_sub_f32 v13, v22, v18 :: v_dual_add_f32 v18, v17, v29
	s_barrier_wait -1
	global_inv scope:SCOPE_SE
	s_wait_alu 0xf1ff
	v_cndmask_b32_e64 v22, -v27, v27, s5
	v_lshlrev_b32_e32 v1, 2, v1
	ds_bpermute_b32 v40, v1, v27
	s_wait_dscnt 0x0
	v_add_f32_e32 v22, v22, v40
	ds_bpermute_b32 v41, v1, v16
	ds_bpermute_b32 v42, v1, v24
	;; [unrolled: 1-line block ×4, first 2 shown]
	v_cndmask_b32_e64 v26, -v26, v26, s5
	v_sub_f32_e32 v17, v29, v17
	ds_bpermute_b32 v27, v1, v21
	ds_bpermute_b32 v29, v1, v28
	;; [unrolled: 1-line block ×5, first 2 shown]
	v_cndmask_b32_e64 v16, -v16, v16, s5
	v_cndmask_b32_e64 v24, -v24, v24, s5
	;; [unrolled: 1-line block ×7, first 2 shown]
	ds_bpermute_b32 v48, v1, v25
	v_cndmask_b32_e64 v25, -v25, v25, s5
	s_wait_dscnt 0x9
	v_add_f32_e32 v16, v16, v41
	s_wait_dscnt 0x7
	v_dual_add_f32 v24, v24, v42 :: v_dual_add_f32 v23, v23, v43
	ds_bpermute_b32 v41, v1, v6
	ds_bpermute_b32 v42, v1, v30
	ds_bpermute_b32 v43, v1, v8
	s_wait_dscnt 0x8
	v_add_f32_e32 v21, v21, v27
	v_cndmask_b32_e64 v6, -v6, v6, s5
	v_cndmask_b32_e64 v30, -v30, v30, s5
	s_wait_dscnt 0x6
	v_dual_add_f32 v27, v28, v29 :: v_dual_add_f32 v28, v2, v46
	s_wait_dscnt 0x5
	v_add_f32_e32 v29, v31, v47
	v_cndmask_b32_e64 v2, -v36, v36, s5
	ds_bpermute_b32 v31, v1, v11
	ds_bpermute_b32 v36, v1, v37
	;; [unrolled: 1-line block ×3, first 2 shown]
	v_cndmask_b32_e64 v8, -v8, v8, s5
	s_wait_dscnt 0x7
	v_add_f32_e32 v40, v2, v40
	v_cndmask_b32_e64 v2, -v11, v11, s5
	v_cndmask_b32_e64 v11, -v37, v37, s5
	;; [unrolled: 1-line block ×3, first 2 shown]
	ds_bpermute_b32 v38, v1, v5
	v_add_f32_e32 v26, v26, v44
	ds_bpermute_b32 v44, v1, v3
	s_wait_dscnt 0x7
	v_add_f32_e32 v6, v6, v41
	s_wait_dscnt 0x5
	v_add_f32_e32 v8, v8, v43
	ds_bpermute_b32 v41, v1, v15
	ds_bpermute_b32 v47, v1, v7
	v_cndmask_b32_e64 v3, -v3, v3, s5
	v_add_f32_e32 v30, v30, v42
	ds_bpermute_b32 v42, v1, v10
	v_cndmask_b32_e64 v10, -v10, v10, s5
	v_cndmask_b32_e64 v7, -v7, v7, s5
	s_wait_dscnt 0x7
	v_add_f32_e32 v31, v2, v31
	v_cndmask_b32_e64 v2, -v5, v5, s5
	v_add_f32_e32 v25, v25, v48
	ds_bpermute_b32 v48, v1, v45
	v_cndmask_b32_e64 v5, -v15, v15, s5
	ds_bpermute_b32 v15, v1, v39
	v_cndmask_b32_e64 v45, -v45, v45, s5
	s_wait_dscnt 0x6
	v_dual_add_f32 v11, v11, v36 :: v_dual_add_f32 v38, v2, v38
	v_cndmask_b32_e64 v2, -v39, v39, s5
	v_xor_b32_e32 v39, 2, v4
	s_wait_dscnt 0x5
	v_dual_add_f32 v3, v3, v44 :: v_dual_add_f32 v36, v37, v46
	ds_bpermute_b32 v46, v1, v18
	v_cndmask_b32_e64 v18, -v18, v18, s5
	v_cmp_gt_i32_e64 s6, 32, v39
	ds_bpermute_b32 v44, v1, v9
	s_wait_dscnt 0x4
	v_add_f32_e32 v10, v10, v42
	ds_bpermute_b32 v42, v1, v20
	v_cndmask_b32_e64 v9, -v9, v9, s5
	v_cndmask_b32_e64 v39, v4, v39, s6
	v_cndmask_b32_e64 v20, -v20, v20, s5
	v_add_f32_e32 v5, v5, v41
	s_wait_dscnt 0x4
	v_add_f32_e32 v37, v45, v48
	ds_bpermute_b32 v45, v1, v14
	s_wait_dscnt 0x4
	v_add_f32_e32 v15, v2, v15
	v_lshlrev_b32_e32 v2, 2, v39
	ds_bpermute_b32 v43, v1, v13
	v_cndmask_b32_e64 v14, -v14, v14, s5
	v_add_f32_e32 v7, v7, v47
	v_cndmask_b32_e64 v13, -v13, v13, s5
	ds_bpermute_b32 v47, v2, v24
	v_and_b32_e32 v39, 2, v0
	ds_bpermute_b32 v49, v2, v26
	ds_bpermute_b32 v41, v1, v12
	;; [unrolled: 1-line block ×3, first 2 shown]
	s_wait_dscnt 0x8
	v_add_f32_e32 v18, v18, v46
	v_cmp_eq_u32_e64 s6, 0, v39
	ds_bpermute_b32 v39, v2, v21
	ds_bpermute_b32 v46, v2, v16
	s_wait_dscnt 0x8
	v_add_f32_e32 v20, v20, v42
	ds_bpermute_b32 v42, v2, v28
	s_wait_alu 0xf1ff
	v_cndmask_b32_e64 v26, -v26, v26, s6
	v_cndmask_b32_e64 v16, -v16, v16, s6
	s_wait_dscnt 0x8
	v_add_f32_e32 v14, v14, v45
	ds_bpermute_b32 v45, v2, v22
	v_cndmask_b32_e64 v22, -v22, v22, s6
	s_wait_dscnt 0x8
	v_add_f32_e32 v13, v13, v43
	ds_bpermute_b32 v43, v1, v19
	v_cndmask_b32_e64 v19, -v19, v19, s5
	v_add_f32_e32 v9, v9, v44
	ds_bpermute_b32 v44, v1, v17
	v_cndmask_b32_e64 v12, -v12, v12, s5
	s_wait_dscnt 0x8
	v_add_f32_e32 v26, v26, v49
	ds_bpermute_b32 v49, v2, v3
	v_cndmask_b32_e64 v24, -v24, v24, s6
	v_cndmask_b32_e64 v23, -v23, v23, s6
	v_cndmask_b32_e64 v21, -v21, v21, s6
	v_cndmask_b32_e64 v17, -v17, v17, s5
	s_wait_dscnt 0x8
	v_add_f32_e32 v12, v12, v41
	v_add_f32_e32 v24, v24, v47
	v_cndmask_b32_e64 v28, -v28, v28, s6
	ds_bpermute_b32 v47, v2, v30
	v_cndmask_b32_e64 v30, -v30, v30, s6
	s_wait_dscnt 0x4
	v_dual_add_f32 v23, v23, v48 :: v_dual_add_f32 v22, v22, v45
	ds_bpermute_b32 v45, v2, v40
	ds_bpermute_b32 v48, v2, v8
	s_wait_dscnt 0x5
	v_add_f32_e32 v19, v19, v43
	ds_bpermute_b32 v43, v2, v29
	v_cndmask_b32_e64 v8, -v8, v8, s6
	v_add_f32_e32 v21, v21, v39
	v_cndmask_b32_e64 v39, -v40, v40, s6
	v_cndmask_b32_e64 v3, -v3, v3, s6
	ds_bpermute_b32 v40, v2, v31
	ds_bpermute_b32 v41, v2, v27
	v_add_f32_e32 v16, v16, v46
	ds_bpermute_b32 v46, v2, v6
	v_add_f32_e32 v28, v28, v42
	v_cndmask_b32_e64 v6, -v6, v6, s6
	s_wait_dscnt 0x8
	v_add_f32_e32 v17, v17, v44
	ds_bpermute_b32 v44, v2, v25
	ds_bpermute_b32 v42, v2, v36
	v_cndmask_b32_e64 v29, -v29, v29, s6
	v_cndmask_b32_e64 v27, -v27, v27, s6
	v_cndmask_b32_e64 v25, -v25, v25, s6
	s_wait_dscnt 0x7
	v_add_f32_e32 v39, v39, v45
	v_add_f32_e32 v45, v3, v49
	v_cndmask_b32_e64 v3, -v31, v31, s6
	v_cndmask_b32_e64 v31, -v36, v36, s6
	ds_bpermute_b32 v36, v2, v38
	s_wait_dscnt 0x6
	v_add_f32_e32 v29, v29, v43
	v_add_f32_e32 v30, v30, v47
	ds_bpermute_b32 v47, v2, v10
	s_wait_dscnt 0x6
	v_add_f32_e32 v40, v3, v40
	v_cndmask_b32_e64 v3, -v38, v38, s6
	ds_bpermute_b32 v38, v2, v15
	s_wait_dscnt 0x5
	v_add_f32_e32 v6, v6, v46
	ds_bpermute_b32 v46, v2, v5
	v_cndmask_b32_e64 v5, -v5, v5, s6
	v_cndmask_b32_e64 v10, -v10, v10, s6
	v_add_f32_e32 v27, v27, v41
	ds_bpermute_b32 v41, v2, v11
	s_wait_dscnt 0x5
	v_add_f32_e32 v31, v31, v42
	ds_bpermute_b32 v42, v2, v18
	v_cndmask_b32_e64 v11, -v11, v11, s6
	ds_bpermute_b32 v43, v2, v7
	v_cndmask_b32_e64 v7, -v7, v7, s6
	v_add_f32_e32 v8, v8, v48
	ds_bpermute_b32 v48, v2, v13
	s_wait_dscnt 0x7
	v_add_f32_e32 v36, v3, v36
	v_cndmask_b32_e64 v3, -v15, v15, s6
	v_add_f32_e32 v25, v25, v44
	ds_bpermute_b32 v44, v2, v37
	v_cndmask_b32_e64 v15, -v18, v18, s6
	v_xor_b32_e32 v18, 4, v4
	v_cndmask_b32_e64 v37, -v37, v37, s6
	s_wait_dscnt 0x6
	v_add_f32_e32 v38, v3, v38
	v_cndmask_b32_e64 v13, -v13, v13, s6
	ds_bpermute_b32 v49, v2, v9
	v_cmp_gt_i32_e64 s7, 32, v18
	v_add_f32_e32 v10, v10, v47
	v_cndmask_b32_e64 v9, -v9, v9, s6
	s_wait_dscnt 0x6
	v_add_f32_e32 v5, v5, v46
	s_wait_dscnt 0x4
	v_add_f32_e32 v15, v15, v42
	s_wait_alu 0xf1ff
	v_cndmask_b32_e64 v18, v4, v18, s7
	ds_bpermute_b32 v46, v2, v19
	v_cndmask_b32_e64 v19, -v19, v19, s6
	ds_bpermute_b32 v47, v2, v17
	v_cndmask_b32_e64 v17, -v17, v17, s6
	v_lshlrev_b32_e32 v3, 2, v18
	v_cndmask_b32_e64 v18, -v20, v20, s6
	ds_bpermute_b32 v42, v3, v16
	s_wait_dscnt 0x4
	v_add_f32_e32 v37, v37, v44
	ds_bpermute_b32 v44, v2, v20
	v_add_f32_e32 v11, v11, v41
	ds_bpermute_b32 v41, v2, v14
	v_and_b32_e32 v20, 4, v0
	v_cndmask_b32_e64 v14, -v14, v14, s6
	ds_bpermute_b32 v50, v3, v26
	v_add_f32_e32 v13, v13, v48
	ds_bpermute_b32 v48, v3, v24
	v_cmp_eq_u32_e64 s7, 0, v20
	s_wait_alu 0xf1ff
	s_delay_alu instid0(VALU_DEP_1) | instskip(SKIP_2) | instid1(VALU_DEP_1)
	v_cndmask_b32_e64 v20, -v22, v22, s7
	v_cndmask_b32_e64 v16, -v16, v16, s7
	s_wait_dscnt 0x4
	v_add_f32_e32 v16, v16, v42
	s_wait_dscnt 0x3
	v_add_f32_e32 v18, v18, v44
	;; [unrolled: 2-line block ×3, first 2 shown]
	ds_bpermute_b32 v41, v3, v22
	v_add_f32_e32 v7, v7, v43
	ds_bpermute_b32 v43, v2, v12
	v_cndmask_b32_e64 v12, -v12, v12, s6
	v_cndmask_b32_e64 v22, -v24, v24, s7
	;; [unrolled: 1-line block ×3, first 2 shown]
	ds_bpermute_b32 v26, v3, v21
	v_cndmask_b32_e64 v21, -v21, v21, s7
	s_wait_dscnt 0x3
	v_dual_add_f32 v9, v9, v49 :: v_dual_add_f32 v22, v22, v48
	v_add_f32_e32 v24, v24, v50
	s_wait_dscnt 0x2
	v_add_f32_e32 v20, v20, v41
	s_wait_dscnt 0x1
	v_add_f32_e32 v12, v12, v43
	ds_bpermute_b32 v43, v3, v27
	v_cndmask_b32_e64 v27, -v27, v27, s7
	s_wait_dscnt 0x0
	s_delay_alu instid0(VALU_DEP_1)
	v_dual_add_f32 v21, v21, v26 :: v_dual_add_f32 v26, v27, v43
	ds_bpermute_b32 v49, v3, v23
	v_cndmask_b32_e64 v23, -v23, v23, s7
	ds_bpermute_b32 v44, v3, v28
	ds_bpermute_b32 v43, v3, v40
	;; [unrolled: 1-line block ×4, first 2 shown]
	v_cndmask_b32_e64 v28, -v28, v28, s7
	v_cndmask_b32_e64 v40, -v40, v40, s7
	;; [unrolled: 1-line block ×3, first 2 shown]
	ds_bpermute_b32 v42, v3, v6
	v_cndmask_b32_e64 v6, -v6, v6, s7
	v_add_f32_e32 v17, v17, v47
	ds_bpermute_b32 v47, v3, v25
	v_cndmask_b32_e64 v25, -v25, v25, s7
	ds_bpermute_b32 v50, v3, v45
	s_wait_dscnt 0x7
	v_add_f32_e32 v23, v23, v49
	ds_bpermute_b32 v49, v3, v8
	v_cndmask_b32_e64 v8, -v8, v8, s7
	v_add_f32_e32 v19, v19, v46
	ds_bpermute_b32 v46, v3, v29
	v_cndmask_b32_e64 v29, -v29, v29, s7
	s_wait_dscnt 0x7
	v_add_f32_e32 v40, v40, v43
	ds_bpermute_b32 v43, v3, v38
	v_cndmask_b32_e64 v38, -v38, v38, s7
	v_add_f32_e32 v27, v28, v44
	s_wait_dscnt 0x6
	v_add_f32_e32 v30, v30, v48
	ds_bpermute_b32 v48, v3, v10
	v_cndmask_b32_e64 v10, -v10, v10, s7
	ds_bpermute_b32 v44, v3, v11
	s_wait_dscnt 0x7
	v_add_f32_e32 v6, v6, v42
	ds_bpermute_b32 v42, v3, v5
	v_cndmask_b32_e64 v11, -v11, v11, s7
	v_cndmask_b32_e64 v5, -v5, v5, s7
	s_wait_dscnt 0x5
	v_add_f32_e32 v8, v8, v49
	ds_bpermute_b32 v49, v3, v13
	v_cndmask_b32_e64 v13, -v13, v13, s7
	s_wait_dscnt 0x5
	v_add_f32_e32 v28, v29, v46
	v_cndmask_b32_e64 v29, -v39, v39, s7
	v_cndmask_b32_e64 v39, -v45, v45, s7
	s_wait_dscnt 0x4
	v_dual_add_f32 v38, v38, v43 :: v_dual_and_b32 v43, 8, v0
	ds_bpermute_b32 v45, v3, v31
	s_wait_dscnt 0x4
	v_dual_add_f32 v29, v29, v41 :: v_dual_add_f32 v10, v10, v48
	ds_bpermute_b32 v41, v3, v36
	v_cndmask_b32_e64 v36, -v36, v36, s7
	v_add_f32_e32 v25, v25, v47
	ds_bpermute_b32 v46, v3, v7
	v_cndmask_b32_e64 v31, -v31, v31, s7
	v_cndmask_b32_e64 v7, -v7, v7, s7
	ds_bpermute_b32 v47, v3, v37
	v_cndmask_b32_e64 v37, -v37, v37, s7
	ds_bpermute_b32 v48, v3, v17
	v_cndmask_b32_e64 v17, -v17, v17, s7
	s_wait_dscnt 0x3
	v_add_f32_e32 v36, v36, v41
	v_xor_b32_e32 v41, 8, v4
	s_delay_alu instid0(VALU_DEP_1) | instskip(NEXT) | instid1(VALU_DEP_1)
	v_cmp_gt_i32_e64 s8, 32, v41
	v_cndmask_b32_e64 v41, v4, v41, s8
	v_cmp_eq_u32_e64 s8, 0, v43
	s_delay_alu instid0(VALU_DEP_2)
	v_lshlrev_b32_e32 v41, 2, v41
	ds_bpermute_b32 v51, v41, v24
	s_wait_alu 0xf1ff
	v_cndmask_b32_e64 v24, -v24, v24, s8
	v_add_f32_e32 v13, v13, v49
	ds_bpermute_b32 v49, v41, v22
	v_cndmask_b32_e64 v22, -v22, v22, s8
	v_add_f32_e32 v5, v5, v42
	ds_bpermute_b32 v42, v3, v12
	;; [unrolled: 3-line block ×4, first 2 shown]
	v_cndmask_b32_e64 v9, -v9, v9, s7
	s_wait_dscnt 0x4
	v_add_f32_e32 v24, v24, v51
	s_wait_dscnt 0x3
	v_add_f32_e32 v22, v22, v49
	;; [unrolled: 2-line block ×3, first 2 shown]
	ds_bpermute_b32 v42, v41, v21
	v_cndmask_b32_e64 v21, -v21, v21, s8
	s_wait_dscnt 0x2
	v_add_f32_e32 v14, v14, v44
	ds_bpermute_b32 v44, v41, v20
	v_cndmask_b32_e64 v20, -v20, v20, s8
	v_add_f32_e32 v7, v7, v46
	ds_bpermute_b32 v46, v3, v18
	v_cndmask_b32_e64 v18, -v18, v18, s7
	;; [unrolled: 3-line block ×3, first 2 shown]
	s_wait_dscnt 0x3
	v_add_f32_e32 v21, v21, v42
	ds_bpermute_b32 v42, v41, v40
	s_wait_dscnt 0x3
	v_add_f32_e32 v20, v20, v44
	ds_bpermute_b32 v44, v41, v29
	v_cndmask_b32_e64 v29, -v29, v29, s8
	s_wait_dscnt 0x2
	v_dual_add_f32 v18, v18, v46 :: v_dual_add_f32 v15, v15, v45
	ds_bpermute_b32 v45, v41, v16
	v_cndmask_b32_e64 v16, -v16, v16, s8
	v_add_f32_e32 v37, v37, v47
	ds_bpermute_b32 v47, v3, v19
	v_cndmask_b32_e64 v19, -v19, v19, s7
	s_wait_dscnt 0x1
	v_dual_add_f32 v29, v29, v44 :: v_dual_add_f32 v16, v16, v45
	ds_bpermute_b32 v45, v41, v6
	v_cndmask_b32_e64 v6, -v6, v6, s8
	s_wait_dscnt 0x0
	s_delay_alu instid0(VALU_DEP_1) | instskip(SKIP_1) | instid1(VALU_DEP_1)
	v_add_f32_e32 v44, v6, v45
	v_cndmask_b32_e64 v6, -v40, v40, s8
	v_add_f32_e32 v42, v6, v42
	ds_bpermute_b32 v43, v41, v26
	ds_bpermute_b32 v46, v41, v27
	v_cndmask_b32_e64 v26, -v26, v26, s8
	v_add_f32_e32 v9, v9, v50
	ds_bpermute_b32 v50, v41, v23
	ds_bpermute_b32 v49, v41, v30
	v_cndmask_b32_e64 v30, -v30, v30, s8
	v_add_f32_e32 v19, v19, v47
	ds_bpermute_b32 v47, v41, v28
	v_cndmask_b32_e64 v23, -v23, v23, s8
	v_cndmask_b32_e64 v27, -v27, v27, s8
	;; [unrolled: 1-line block ×3, first 2 shown]
	ds_bpermute_b32 v51, v41, v39
	ds_bpermute_b32 v40, v41, v5
	v_cndmask_b32_e64 v6, -v36, v36, s8
	v_cndmask_b32_e64 v5, -v5, v5, s8
	;; [unrolled: 1-line block ×3, first 2 shown]
	s_wait_dscnt 0x5
	v_dual_add_f32 v26, v26, v43 :: v_dual_add_f32 v27, v27, v46
	ds_bpermute_b32 v46, v41, v31
	v_cndmask_b32_e64 v31, -v31, v31, s8
	s_wait_dscnt 0x5
	v_add_f32_e32 v23, v23, v50
	ds_bpermute_b32 v50, v41, v8
	v_cndmask_b32_e64 v8, -v8, v8, s8
	s_wait_dscnt 0x5
	v_add_f32_e32 v30, v30, v49
	s_wait_dscnt 0x4
	v_add_f32_e32 v28, v28, v47
	ds_bpermute_b32 v47, v41, v7
	v_cndmask_b32_e64 v7, -v7, v7, s8
	v_add_f32_e32 v17, v17, v48
	ds_bpermute_b32 v49, v41, v10
	s_wait_dscnt 0x4
	v_add_f32_e32 v40, v5, v40
	v_cndmask_b32_e64 v5, -v38, v38, s8
	ds_bpermute_b32 v48, v41, v25
	v_cndmask_b32_e64 v10, -v10, v10, s8
	ds_bpermute_b32 v43, v41, v11
	v_cndmask_b32_e64 v25, -v25, v25, s8
	s_wait_dscnt 0x5
	v_add_f32_e32 v31, v31, v46
	s_wait_dscnt 0x3
	v_add_f32_e32 v46, v7, v47
	ds_bpermute_b32 v7, v41, v38
	v_add_f32_e32 v45, v8, v50
	ds_bpermute_b32 v50, v41, v13
	v_cndmask_b32_e64 v13, -v13, v13, s8
	v_add_f32_e32 v39, v39, v51
	ds_bpermute_b32 v51, v41, v9
	v_cndmask_b32_e64 v9, -v9, v9, s8
	s_wait_dscnt 0x5
	v_add_f32_e32 v47, v10, v49
	v_cndmask_b32_e64 v8, -v11, v11, s8
	ds_bpermute_b32 v11, v41, v36
	ds_bpermute_b32 v10, v41, v12
	s_wait_dscnt 0x4
	v_add_f32_e32 v38, v5, v7
	v_cndmask_b32_e64 v7, -v12, v12, s8
	v_add_f32_e32 v25, v25, v48
	ds_bpermute_b32 v48, v41, v37
	v_cndmask_b32_e64 v37, -v37, v37, s8
	s_wait_dscnt 0x3
	v_add_f32_e32 v49, v9, v51
	v_xor_b32_e32 v9, 16, v4
	v_cndmask_b32_e64 v5, -v15, v15, s8
	s_wait_dscnt 0x2
	v_add_f32_e32 v36, v6, v11
	ds_bpermute_b32 v6, v41, v15
	v_cmp_gt_i32_e64 s9, 32, v9
	v_cndmask_b32_e64 v11, -v14, v14, s8
	s_wait_dscnt 0x2
	v_add_f32_e32 v52, v7, v10
	s_wait_alu 0xf1ff
	v_cndmask_b32_e64 v4, v4, v9, s9
	ds_bpermute_b32 v9, v41, v17
	v_lshlrev_b32_e32 v51, 2, v4
	v_cndmask_b32_e64 v4, -v18, v18, s8
	s_wait_dscnt 0x2
	v_add_f32_e32 v37, v37, v48
	v_add_f32_e32 v48, v13, v50
	ds_bpermute_b32 v13, v41, v18
	ds_bpermute_b32 v12, v51, v20
	v_add_f32_e32 v43, v8, v43
	ds_bpermute_b32 v8, v41, v14
	ds_bpermute_b32 v14, v41, v19
	;; [unrolled: 1-line block ×4, first 2 shown]
	s_wait_dscnt 0x7
	v_add_f32_e32 v41, v5, v6
	s_wait_dscnt 0x5
	v_add_f32_e32 v53, v4, v13
	v_cndmask_b32_e64 v4, -v17, v17, s8
	s_wait_dscnt 0x3
	v_add_f32_e32 v50, v11, v8
	v_cndmask_b32_e64 v8, -v19, v19, s8
	ds_bpermute_b32 v19, v51, v23
	v_and_b32_e32 v11, 16, v0
	v_add_f32_e32 v55, v4, v9
	s_wait_dscnt 0x3
	v_add_f32_e32 v54, v8, v14
	ds_bpermute_b32 v14, v51, v27
	v_cmp_eq_u32_e64 s9, 0, v11
	ds_bpermute_b32 v11, v51, v21
	s_wait_alu 0xf1ff
	v_cndmask_b32_e64 v5, -v20, v20, s9
	v_cndmask_b32_e64 v6, -v16, v16, s9
	;; [unrolled: 1-line block ×5, first 2 shown]
	s_wait_dscnt 0x4
	v_dual_add_f32 v4, v5, v12 :: v_dual_add_f32 v5, v6, v15
	s_wait_dscnt 0x3
	v_add_f32_e32 v6, v7, v18
	v_cndmask_b32_e64 v15, -v27, v27, s9
	s_wait_dscnt 0x2
	v_add_f32_e32 v7, v8, v19
	ds_bpermute_b32 v19, v51, v29
	v_cndmask_b32_e64 v8, -v24, v24, s9
	v_cndmask_b32_e64 v12, -v26, v26, s9
	;; [unrolled: 1-line block ×3, first 2 shown]
	s_wait_dscnt 0x1
	v_add_f32_e32 v9, v9, v11
	v_add_f32_e32 v11, v15, v14
	v_cndmask_b32_e64 v14, -v29, v29, s9
	v_cndmask_b32_e64 v15, -v44, v44, s9
	s_wait_dscnt 0x0
	s_delay_alu instid0(VALU_DEP_2)
	v_add_f32_e32 v14, v14, v19
	ds_bpermute_b32 v10, v51, v24
	ds_bpermute_b32 v13, v51, v26
	;; [unrolled: 1-line block ×10, first 2 shown]
	v_cndmask_b32_e64 v19, -v42, v42, s9
	ds_bpermute_b32 v28, v51, v37
	v_cndmask_b32_e64 v44, -v52, v52, s9
	ds_bpermute_b32 v29, v51, v36
	s_wait_dscnt 0xb
	v_add_f32_e32 v8, v8, v10
	s_wait_dscnt 0xa
	v_add_f32_e32 v10, v12, v13
	v_cndmask_b32_e64 v13, -v25, v25, s9
	ds_bpermute_b32 v25, v51, v43
	s_wait_dscnt 0xa
	v_add_f32_e32 v12, v17, v16
	v_cndmask_b32_e64 v16, -v30, v30, s9
	ds_bpermute_b32 v26, v51, v31
	;; [unrolled: 4-line block ×3, first 2 shown]
	v_add_f32_e32 v13, v13, v18
	v_cndmask_b32_e64 v18, -v39, v39, s9
	ds_bpermute_b32 v39, v51, v48
	v_cndmask_b32_e64 v17, -v45, v45, s9
	s_wait_dscnt 0xa
	v_add_f32_e32 v16, v16, v21
	v_cndmask_b32_e64 v21, -v31, v31, s9
	ds_bpermute_b32 v30, v51, v40
	ds_bpermute_b32 v31, v51, v47
	s_wait_dscnt 0xa
	v_dual_add_f32 v18, v18, v23 :: v_dual_add_f32 v19, v19, v24
	v_cndmask_b32_e64 v23, -v37, v37, s9
	v_cndmask_b32_e64 v24, -v36, v36, s9
	ds_bpermute_b32 v36, v51, v49
	s_wait_dscnt 0x6
	v_add_f32_e32 v20, v20, v25
	v_cndmask_b32_e64 v25, -v40, v40, s9
	ds_bpermute_b32 v37, v51, v38
	ds_bpermute_b32 v40, v51, v50
	;; [unrolled: 1-line block ×3, first 2 shown]
	v_add_f32_e32 v17, v17, v22
	v_cndmask_b32_e64 v22, -v46, v46, s9
	s_wait_dscnt 0x8
	v_add_f32_e32 v21, v21, v26
	v_cndmask_b32_e64 v26, -v47, v47, s9
	v_add_f32_e32 v23, v23, v28
	v_cndmask_b32_e64 v28, -v49, v49, s9
	;; [unrolled: 2-line block ×3, first 2 shown]
	v_cndmask_b32_e64 v38, -v38, v38, s9
	v_cndmask_b32_e64 v41, -v41, v41, s9
	s_wait_dscnt 0x5
	v_dual_add_f32 v24, v24, v29 :: v_dual_add_f32 v25, v25, v30
	v_add_f32_e32 v27, v27, v39
	v_cndmask_b32_e64 v39, -v50, v50, s9
	s_wait_dscnt 0x4
	v_add_f32_e32 v26, v26, v31
	ds_bpermute_b32 v29, v51, v53
	ds_bpermute_b32 v30, v51, v54
	ds_bpermute_b32 v31, v51, v55
	s_wait_dscnt 0x5
	v_dual_add_f32 v36, v28, v36 :: v_dual_add_f32 v37, v38, v37
	s_wait_dscnt 0x3
	v_dual_add_f32 v38, v39, v40 :: v_dual_add_f32 v39, v41, v42
	v_add_f32_e32 v40, v44, v43
	v_lshrrev_b32_e32 v28, 5, v0
	v_and_b32_e32 v44, 7, v0
	v_lshrrev_b32_e32 v41, 3, v0
	v_cndmask_b32_e64 v42, -v53, v53, s9
	v_cndmask_b32_e64 v43, -v54, v54, s9
	v_xor_b32_e32 v0, v28, v0
	v_cndmask_b32_e64 v45, -v55, v55, s9
	v_lshl_or_b32 v46, v44, 5, v41
	s_delay_alu instid0(VALU_DEP_3) | instskip(NEXT) | instid1(VALU_DEP_2)
	v_lshl_add_u32 v28, v0, 4, 0
	v_xor_b32_e32 v0, v46, v44
	s_wait_dscnt 0x1
	v_dual_add_f32 v41, v42, v29 :: v_dual_add_f32 v42, v43, v30
	s_wait_dscnt 0x0
	v_add_f32_e32 v43, v45, v31
	ds_store_b128 v28, v[4:7]
	ds_store_b128 v28, v[8:11] offset:4096
	ds_store_b128 v28, v[12:15] offset:8192
	;; [unrolled: 1-line block ×7, first 2 shown]
	v_lshl_add_u32 v0, v0, 4, 0
	s_wait_loadcnt_dscnt 0x0
	s_barrier_signal -1
	s_barrier_wait -1
	global_inv scope:SCOPE_SE
	ds_load_b128 v[4:7], v0
	ds_load_b128 v[8:11], v0 offset:4096
	ds_load_b128 v[12:15], v0 offset:8192
	;; [unrolled: 1-line block ×7, first 2 shown]
	s_wait_loadcnt_dscnt 0x0
	s_barrier_signal -1
	s_barrier_wait -1
	global_inv scope:SCOPE_SE
	ds_bpermute_b32 v29, v1, v4
	v_cndmask_b32_e64 v4, -v4, v4, s5
	ds_bpermute_b32 v30, v1, v5
	ds_bpermute_b32 v45, v1, v8
	ds_bpermute_b32 v46, v1, v9
	ds_bpermute_b32 v48, v1, v12
	v_cndmask_b32_e64 v5, -v5, v5, s5
	v_cndmask_b32_e64 v8, -v8, v8, s5
	;; [unrolled: 1-line block ×4, first 2 shown]
	ds_bpermute_b32 v31, v1, v6
	ds_bpermute_b32 v47, v1, v11
	v_cndmask_b32_e64 v6, -v6, v6, s5
	v_cndmask_b32_e64 v11, -v11, v11, s5
	ds_bpermute_b32 v44, v1, v7
	ds_bpermute_b32 v49, v1, v13
	v_cndmask_b32_e64 v7, -v7, v7, s5
	v_cndmask_b32_e64 v13, -v13, v13, s5
	ds_bpermute_b32 v50, v1, v14
	v_cndmask_b32_e64 v14, -v14, v14, s5
	s_wait_dscnt 0x9
	v_add_f32_e32 v4, v4, v29
	ds_bpermute_b32 v29, v1, v10
	v_cndmask_b32_e64 v10, -v10, v10, s5
	s_wait_dscnt 0x8
	v_add_f32_e32 v8, v8, v45
	ds_bpermute_b32 v45, v1, v18
	s_wait_dscnt 0x7
	v_add_f32_e32 v12, v12, v48
	ds_bpermute_b32 v48, v1, v22
	v_cndmask_b32_e64 v22, -v22, v22, s5
	v_add_f32_e32 v9, v9, v46
	ds_bpermute_b32 v46, v1, v19
	v_cndmask_b32_e64 v18, -v18, v18, s5
	v_cndmask_b32_e64 v19, -v19, v19, s5
	s_wait_dscnt 0x8
	v_add_f32_e32 v6, v6, v31
	ds_bpermute_b32 v31, v1, v16
	v_cndmask_b32_e64 v16, -v16, v16, s5
	s_wait_dscnt 0x5
	v_add_f32_e32 v14, v14, v50
	ds_bpermute_b32 v50, v1, v24
	v_cndmask_b32_e64 v24, -v24, v24, s5
	s_wait_dscnt 0x5
	v_add_f32_e32 v10, v10, v29
	ds_bpermute_b32 v29, v1, v20
	v_cndmask_b32_e64 v20, -v20, v20, s5
	v_add_f32_e32 v5, v5, v30
	ds_bpermute_b32 v30, v1, v15
	v_cndmask_b32_e64 v15, -v15, v15, s5
	s_wait_dscnt 0x6
	v_add_f32_e32 v18, v18, v45
	ds_bpermute_b32 v45, v1, v36
	s_wait_dscnt 0x5
	v_add_f32_e32 v19, v19, v46
	ds_bpermute_b32 v46, v1, v37
	v_add_f32_e32 v22, v22, v48
	ds_bpermute_b32 v48, v1, v40
	s_wait_dscnt 0x6
	v_add_f32_e32 v16, v16, v31
	ds_bpermute_b32 v31, v1, v26
	v_cndmask_b32_e64 v26, -v26, v26, s5
	v_add_f32_e32 v7, v7, v44
	ds_bpermute_b32 v44, v1, v17
	v_cndmask_b32_e64 v17, -v17, v17, s5
	s_wait_dscnt 0x7
	v_add_f32_e32 v24, v24, v50
	ds_bpermute_b32 v50, v1, v42
	s_wait_dscnt 0x7
	v_add_f32_e32 v20, v20, v29
	v_cndmask_b32_e64 v29, -v36, v36, s5
	v_cndmask_b32_e64 v36, -v37, v37, s5
	v_add_f32_e32 v11, v11, v47
	ds_bpermute_b32 v47, v1, v21
	s_wait_dscnt 0x7
	v_add_f32_e32 v15, v15, v30
	ds_bpermute_b32 v30, v1, v25
	v_cndmask_b32_e64 v21, -v21, v21, s5
	v_cndmask_b32_e64 v25, -v25, v25, s5
	ds_bpermute_b32 v37, v1, v38
	s_wait_dscnt 0x5
	v_add_f32_e32 v26, v26, v31
	v_cndmask_b32_e64 v31, -v38, v38, s5
	v_cndmask_b32_e64 v38, -v40, v40, s5
	;; [unrolled: 1-line block ×3, first 2 shown]
	ds_bpermute_b32 v42, v2, v5
	v_cndmask_b32_e64 v5, -v5, v5, s6
	s_wait_dscnt 0x3
	v_add_f32_e32 v21, v21, v47
	ds_bpermute_b32 v47, v1, v39
	s_wait_dscnt 0x3
	v_add_f32_e32 v25, v25, v30
	v_add_f32_e32 v30, v36, v46
	v_cndmask_b32_e64 v36, -v39, v39, s5
	v_add_f32_e32 v13, v13, v49
	ds_bpermute_b32 v49, v1, v23
	v_cndmask_b32_e64 v23, -v23, v23, s5
	v_cndmask_b32_e64 v39, -v41, v41, s5
	s_wait_dscnt 0x3
	v_add_f32_e32 v31, v31, v37
	ds_bpermute_b32 v46, v2, v9
	v_cndmask_b32_e64 v9, -v9, v9, s6
	s_wait_dscnt 0x2
	v_add_f32_e32 v36, v36, v47
	ds_bpermute_b32 v47, v2, v10
	;; [unrolled: 4-line block ×3, first 2 shown]
	v_add_f32_e32 v17, v17, v44
	ds_bpermute_b32 v44, v1, v27
	ds_bpermute_b32 v41, v2, v4
	v_cndmask_b32_e64 v27, -v27, v27, s5
	v_cndmask_b32_e64 v4, -v4, v4, s6
	ds_bpermute_b32 v1, v1, v43
	s_wait_dscnt 0x4
	v_add_f32_e32 v10, v10, v47
	ds_bpermute_b32 v47, v2, v20
	v_cndmask_b32_e64 v20, -v20, v20, s6
	v_add_f32_e32 v37, v38, v48
	ds_bpermute_b32 v48, v2, v11
	s_wait_dscnt 0x5
	v_add_f32_e32 v38, v39, v49
	ds_bpermute_b32 v49, v2, v12
	v_cndmask_b32_e64 v12, -v12, v12, s6
	s_wait_dscnt 0x4
	v_add_f32_e32 v4, v4, v41
	ds_bpermute_b32 v41, v2, v14
	v_cndmask_b32_e64 v14, -v14, v14, s6
	v_add_f32_e32 v27, v27, v44
	ds_bpermute_b32 v44, v2, v6
	v_cndmask_b32_e64 v6, -v6, v6, s6
	v_cndmask_b32_e64 v11, -v11, v11, s6
	s_wait_dscnt 0x4
	v_add_f32_e32 v20, v20, v47
	s_wait_dscnt 0x2
	v_add_f32_e32 v12, v12, v49
	ds_bpermute_b32 v49, v2, v22
	v_cndmask_b32_e64 v22, -v22, v22, s6
	s_wait_dscnt 0x2
	v_add_f32_e32 v14, v14, v41
	ds_bpermute_b32 v41, v2, v24
	v_cndmask_b32_e64 v24, -v24, v24, s6
	;; [unrolled: 4-line block ×3, first 2 shown]
	v_add_f32_e32 v29, v29, v45
	v_add_f32_e32 v5, v5, v42
	ds_bpermute_b32 v42, v2, v15
	v_add_f32_e32 v39, v40, v50
	v_cndmask_b32_e64 v40, -v43, v43, s5
	v_cndmask_b32_e64 v15, -v15, v15, s6
	ds_bpermute_b32 v43, v2, v8
	v_cndmask_b32_e64 v8, -v8, v8, s6
	ds_bpermute_b32 v45, v2, v7
	v_cndmask_b32_e64 v7, -v7, v7, s6
	s_load_b32 s5, s[0:1], 0x20
	s_mul_u64 s[0:1], s[14:15], s[16:17]
	s_wait_dscnt 0x5
	v_add_f32_e32 v22, v22, v49
	ds_bpermute_b32 v49, v2, v37
	v_cndmask_b32_e64 v37, -v37, v37, s6
	s_wait_dscnt 0x5
	v_add_f32_e32 v24, v24, v41
	ds_bpermute_b32 v41, v2, v39
	s_lshl_b64 s[0:1], s[0:1], 1
	s_wait_dscnt 0x5
	v_add_f32_e32 v16, v16, v44
	ds_bpermute_b32 v44, v2, v26
	v_cndmask_b32_e64 v26, -v26, v26, s6
	v_add_f32_e32 v1, v40, v1
	s_wait_dscnt 0x5
	v_add_f32_e32 v15, v15, v42
	ds_bpermute_b32 v42, v2, v25
	v_cndmask_b32_e64 v25, -v25, v25, s6
	ds_bpermute_b32 v40, v2, v13
	s_wait_dscnt 0x6
	v_add_f32_e32 v8, v8, v43
	ds_bpermute_b32 v43, v2, v18
	v_cndmask_b32_e64 v13, -v13, v13, s6
	v_cndmask_b32_e64 v18, -v18, v18, s6
	s_add_nc_u64 s[0:1], s[10:11], s[0:1]
	s_wait_dscnt 0x3
	v_add_f32_e32 v26, v26, v44
	ds_bpermute_b32 v44, v3, v5
	v_cndmask_b32_e64 v5, -v5, v5, s7
	s_wait_dscnt 0x2
	v_add_f32_e32 v13, v13, v40
	ds_bpermute_b32 v40, v2, v23
	s_wait_dscnt 0x2
	v_add_f32_e32 v18, v18, v43
	ds_bpermute_b32 v43, v2, v29
	v_cndmask_b32_e64 v23, -v23, v23, s6
	v_cndmask_b32_e64 v29, -v29, v29, s6
	ds_bpermute_b32 v47, v2, v31
	v_cndmask_b32_e64 v31, -v31, v31, s6
	s_wait_dscnt 0x3
	v_add_f32_e32 v5, v5, v44
	ds_bpermute_b32 v44, v3, v14
	v_cndmask_b32_e64 v14, -v14, v14, s7
	v_add_f32_e32 v25, v25, v42
	ds_bpermute_b32 v42, v3, v4
	v_cndmask_b32_e64 v4, -v4, v4, s7
	;; [unrolled: 3-line block ×3, first 2 shown]
	s_wait_dscnt 0x5
	v_add_f32_e32 v23, v23, v40
	ds_bpermute_b32 v40, v2, v38
	s_wait_dscnt 0x3
	v_dual_add_f32 v29, v29, v43 :: v_dual_add_f32 v14, v14, v44
	ds_bpermute_b32 v44, v3, v24
	v_cndmask_b32_e64 v24, -v24, v24, s7
	s_wait_dscnt 0x3
	v_dual_add_f32 v4, v4, v42 :: v_dual_add_f32 v31, v31, v47
	s_wait_dscnt 0x2
	v_add_f32_e32 v21, v21, v48
	ds_bpermute_b32 v48, v2, v36
	v_cndmask_b32_e64 v36, -v36, v36, s6
	s_wait_dscnt 0x1
	v_add_f32_e32 v24, v24, v44
	s_wait_dscnt 0x0
	s_delay_alu instid0(VALU_DEP_2)
	v_add_f32_e32 v43, v36, v48
	v_cndmask_b32_e64 v36, -v38, v38, s6
	v_add_f32_e32 v9, v9, v46
	ds_bpermute_b32 v46, v2, v19
	v_cndmask_b32_e64 v19, -v19, v19, s6
	ds_bpermute_b32 v38, v3, v6
	ds_bpermute_b32 v48, v3, v10
	v_add_f32_e32 v40, v36, v40
	v_cndmask_b32_e64 v10, -v10, v10, s7
	ds_bpermute_b32 v36, v3, v11
	ds_bpermute_b32 v47, v3, v9
	v_cndmask_b32_e64 v9, -v9, v9, s7
	ds_bpermute_b32 v44, v3, v40
	s_wait_dscnt 0x5
	v_add_f32_e32 v19, v19, v46
	ds_bpermute_b32 v46, v2, v30
	v_cndmask_b32_e64 v30, -v30, v30, s6
	v_add_f32_e32 v7, v7, v45
	ds_bpermute_b32 v45, v2, v17
	v_cndmask_b32_e64 v17, -v17, v17, s6
	s_wait_dscnt 0x5
	v_add_f32_e32 v10, v10, v48
	ds_bpermute_b32 v48, v3, v20
	v_cndmask_b32_e64 v20, -v20, v20, s7
	s_wait_dscnt 0x2
	v_dual_add_f32 v9, v9, v47 :: v_dual_add_f32 v30, v30, v46
	ds_bpermute_b32 v46, v3, v8
	v_cndmask_b32_e64 v8, -v8, v8, s7
	s_wait_dscnt 0x2
	v_add_f32_e32 v17, v17, v45
	ds_bpermute_b32 v45, v2, v27
	ds_bpermute_b32 v2, v2, v1
	v_cndmask_b32_e64 v1, -v1, v1, s6
	v_cndmask_b32_e64 v27, -v27, v27, s6
	s_wait_dscnt 0x3
	v_add_f32_e32 v20, v20, v48
	ds_bpermute_b32 v48, v3, v31
	v_cndmask_b32_e64 v31, -v31, v31, s7
	s_wait_dscnt 0x3
	v_add_f32_e32 v8, v8, v46
	ds_bpermute_b32 v46, v3, v18
	v_cndmask_b32_e64 v18, -v18, v18, s7
	s_wait_dscnt 0x3
	v_add_f32_e32 v27, v27, v45
	s_wait_dscnt 0x2
	v_add_f32_e32 v1, v1, v2
	v_cndmask_b32_e64 v2, -v6, v6, s7
	v_add_f32_e32 v45, v37, v49
	v_cndmask_b32_e64 v37, -v39, v39, s6
	ds_bpermute_b32 v49, v3, v15
	v_cndmask_b32_e64 v15, -v15, v15, s7
	v_add_f32_e32 v6, v2, v38
	ds_bpermute_b32 v42, v3, v13
	ds_bpermute_b32 v38, v3, v16
	v_cndmask_b32_e64 v2, -v11, v11, s7
	v_cndmask_b32_e64 v13, -v13, v13, s7
	ds_bpermute_b32 v39, v3, v7
	v_cndmask_b32_e64 v7, -v7, v7, s7
	v_add_f32_e32 v11, v2, v36
	v_cndmask_b32_e64 v2, -v16, v16, s7
	s_wait_dscnt 0x3
	v_dual_add_f32 v18, v18, v46 :: v_dual_add_f32 v15, v15, v49
	ds_bpermute_b32 v49, v3, v25
	v_cndmask_b32_e64 v25, -v25, v25, s7
	s_wait_dscnt 0x3
	v_add_f32_e32 v13, v13, v42
	ds_bpermute_b32 v42, v3, v23
	s_wait_dscnt 0x3
	v_add_f32_e32 v16, v2, v38
	ds_bpermute_b32 v38, v3, v26
	v_cndmask_b32_e64 v23, -v23, v23, s7
	v_cndmask_b32_e64 v26, -v26, v26, s7
	ds_bpermute_b32 v36, v3, v21
	v_cndmask_b32_e64 v2, -v21, v21, s7
	s_wait_dscnt 0x3
	v_add_f32_e32 v25, v25, v49
	s_wait_dscnt 0x2
	v_add_f32_e32 v23, v23, v42
	;; [unrolled: 2-line block ×3, first 2 shown]
	v_add_f32_e32 v38, v31, v48
	ds_bpermute_b32 v42, v3, v45
	v_add_f32_e32 v41, v37, v41
	ds_bpermute_b32 v37, v3, v12
	v_cndmask_b32_e64 v12, -v12, v12, s7
	v_cndmask_b32_e64 v31, -v40, v40, s7
	s_wait_dscnt 0x2
	v_add_f32_e32 v21, v2, v36
	ds_bpermute_b32 v2, v3, v43
	s_wait_dscnt 0x1
	v_add_f32_e32 v12, v12, v37
	ds_bpermute_b32 v47, v3, v19
	v_cndmask_b32_e64 v19, -v19, v19, s7
	ds_bpermute_b32 v37, v3, v22
	v_cndmask_b32_e64 v22, -v22, v22, s7
	s_wait_dscnt 0x1
	v_add_f32_e32 v19, v19, v47
	ds_bpermute_b32 v47, v3, v30
	v_cndmask_b32_e64 v30, -v30, v30, s7
	s_wait_dscnt 0x1
	v_add_f32_e32 v22, v22, v37
	ds_bpermute_b32 v46, v3, v29
	v_cndmask_b32_e64 v29, -v29, v29, s7
	v_add_f32_e32 v7, v7, v39
	ds_bpermute_b32 v39, v3, v17
	v_cndmask_b32_e64 v17, -v17, v17, s7
	s_wait_dscnt 0x2
	v_add_f32_e32 v37, v30, v47
	v_cndmask_b32_e64 v30, -v45, v45, s7
	s_wait_dscnt 0x1
	v_add_f32_e32 v36, v29, v46
	v_cndmask_b32_e64 v29, -v43, v43, s7
	s_delay_alu instid0(VALU_DEP_3)
	v_add_f32_e32 v40, v30, v42
	ds_bpermute_b32 v49, v3, v41
	v_cndmask_b32_e64 v43, -v41, v41, s7
	s_wait_dscnt 0x1
	v_add_f32_e32 v17, v17, v39
	ds_bpermute_b32 v39, v3, v27
	v_cndmask_b32_e64 v27, -v27, v27, s7
	v_add_f32_e32 v41, v31, v44
	s_wait_dscnt 0x1
	v_add_f32_e32 v42, v43, v49
	ds_bpermute_b32 v3, v3, v1
	v_cndmask_b32_e64 v1, -v1, v1, s7
	s_wait_dscnt 0x1
	v_add_f32_e32 v27, v27, v39
	v_add_f32_e32 v39, v29, v2
	s_wait_dscnt 0x0
	v_add_f32_e32 v43, v1, v3
	ds_store_b128 v0, v[4:7]
	ds_store_b128 v0, v[8:11] offset:4096
	ds_store_b128 v0, v[12:15] offset:8192
	ds_store_b128 v0, v[16:19] offset:12288
	ds_store_b128 v0, v[20:23] offset:16384
	ds_store_b128 v0, v[24:27] offset:20480
	ds_store_b128 v0, v[36:39] offset:24576
	ds_store_b128 v0, v[40:43] offset:28672
	s_wait_loadcnt_dscnt 0x0
	s_barrier_signal -1
	s_barrier_wait -1
	global_inv scope:SCOPE_SE
	ds_load_b128 v[0:3], v28
	ds_load_b128 v[8:11], v28 offset:8192
	ds_load_b128 v[4:7], v28 offset:16384
	ds_load_b128 v[12:15], v28 offset:24576
	ds_load_b128 v[16:19], v28 offset:4096
	ds_load_b128 v[24:27], v28 offset:12288
	ds_load_b128 v[20:23], v28 offset:20480
	ds_load_b128 v[28:31], v28 offset:28672
	s_wait_dscnt 0x6
	v_dual_add_f32 v41, v0, v8 :: v_dual_add_f32 v42, v1, v9
	s_wait_dscnt 0x4
	v_dual_add_f32 v46, v4, v12 :: v_dual_add_f32 v47, v5, v13
	v_dual_add_f32 v45, v2, v10 :: v_dual_add_f32 v36, v3, v11
	v_add_f32_e32 v49, v6, v14
	v_add_f32_e32 v37, v7, v15
	s_wait_dscnt 0x2
	v_dual_add_f32 v39, v16, v24 :: v_dual_add_f32 v38, v17, v25
	s_wait_dscnt 0x0
	v_dual_add_f32 v43, v20, v28 :: v_dual_add_f32 v40, v21, v29
	v_add_f32_e32 v50, v18, v26
	v_dual_add_f32 v44, v19, v27 :: v_dual_add_f32 v51, v22, v30
	v_add_f32_e32 v48, v23, v31
	s_and_saveexec_b32 s6, vcc_lo
	s_cbranch_execz .LBB23_10
; %bb.9:
	s_delay_alu instid0(VALU_DEP_1) | instskip(SKIP_4) | instid1(VALU_DEP_3)
	v_dual_add_f32 v56, v44, v48 :: v_dual_add_f32 v53, v39, v43
	v_dual_add_f32 v52, v50, v51 :: v_dual_add_f32 v59, v45, v49
	;; [unrolled: 1-line block ×4, first 2 shown]
	s_wait_kmcnt 0x0
	v_fma_mixlo_f16 v55, s5, v52, 0
	v_fma_mixlo_f16 v54, s5, v53, 0
	;; [unrolled: 1-line block ×4, first 2 shown]
	s_delay_alu instid0(VALU_DEP_4) | instskip(NEXT) | instid1(VALU_DEP_4)
	v_fma_mixhi_f16 v55, s5, v56, 0
	v_fma_mixhi_f16 v54, s5, v57, 0
	s_delay_alu instid0(VALU_DEP_4) | instskip(NEXT) | instid1(VALU_DEP_4)
	v_fma_mixhi_f16 v53, s5, v58, 0
	v_fma_mixhi_f16 v52, s5, v61, 0
	global_store_b128 v32, v[52:55], s[0:1]
.LBB23_10:
	s_wait_alu 0xfffe
	s_or_b32 exec_lo, exec_lo, s6
	v_dual_sub_f32 v9, v1, v9 :: v_dual_sub_f32 v8, v0, v8
	v_dual_sub_f32 v13, v5, v13 :: v_dual_sub_f32 v12, v4, v12
	;; [unrolled: 1-line block ×7, first 2 shown]
	v_sub_f32_e32 v14, v18, v26
	v_sub_f32_e32 v15, v22, v30
	s_and_saveexec_b32 s6, s2
	s_cbranch_execnz .LBB23_14
; %bb.11:
	s_wait_alu 0xfffe
	s_or_b32 exec_lo, exec_lo, s6
	s_and_saveexec_b32 s2, s3
	s_cbranch_execnz .LBB23_15
.LBB23_12:
	s_or_b32 exec_lo, exec_lo, s2
	s_and_saveexec_b32 s2, s4
	s_cbranch_execnz .LBB23_16
.LBB23_13:
	s_endpgm
.LBB23_14:
	v_dual_add_f32 v16, v8, v12 :: v_dual_add_f32 v23, v2, v3
	v_dual_add_f32 v20, v9, v13 :: v_dual_add_f32 v21, v4, v6
	;; [unrolled: 1-line block ×3, first 2 shown]
	v_add_f32_e32 v22, v11, v10
	v_add_f32_e32 v24, v5, v7
	s_wait_kmcnt 0x0
	v_fma_mixlo_f16 v16, s5, v16, 0
	v_fma_mixlo_f16 v17, s5, v17, 0
	;; [unrolled: 1-line block ×4, first 2 shown]
	s_delay_alu instid0(VALU_DEP_4) | instskip(NEXT) | instid1(VALU_DEP_4)
	v_fma_mixhi_f16 v16, s5, v20, 0
	v_fma_mixhi_f16 v17, s5, v22, 0
	s_delay_alu instid0(VALU_DEP_4) | instskip(NEXT) | instid1(VALU_DEP_4)
	v_fma_mixhi_f16 v19, s5, v24, 0
	v_fma_mixhi_f16 v18, s5, v23, 0
	global_store_b128 v33, v[16:19], s[0:1]
	s_wait_alu 0xfffe
	s_or_b32 exec_lo, exec_lo, s6
	s_and_saveexec_b32 s2, s3
	s_cbranch_execz .LBB23_12
.LBB23_15:
	v_dual_sub_f32 v16, v41, v46 :: v_dual_sub_f32 v21, v39, v43
	v_dual_sub_f32 v20, v42, v47 :: v_dual_sub_f32 v17, v45, v49
	v_sub_f32_e32 v18, v50, v51
	v_dual_sub_f32 v22, v36, v37 :: v_dual_sub_f32 v23, v38, v40
	v_sub_f32_e32 v24, v44, v48
	s_wait_kmcnt 0x0
	v_fma_mixlo_f16 v17, s5, v17, 0
	v_fma_mixlo_f16 v19, s5, v18, 0
	;; [unrolled: 1-line block ×4, first 2 shown]
	s_delay_alu instid0(VALU_DEP_4) | instskip(NEXT) | instid1(VALU_DEP_4)
	v_fma_mixhi_f16 v17, s5, v22, 0
	v_fma_mixhi_f16 v19, s5, v24, 0
	s_delay_alu instid0(VALU_DEP_4) | instskip(NEXT) | instid1(VALU_DEP_4)
	v_fma_mixhi_f16 v18, s5, v23, 0
	v_fma_mixhi_f16 v16, s5, v20, 0
	global_store_b128 v34, v[16:19], s[0:1]
	s_or_b32 exec_lo, exec_lo, s2
	s_and_saveexec_b32 s2, s4
	s_cbranch_execz .LBB23_13
.LBB23_16:
	v_dual_sub_f32 v9, v9, v13 :: v_dual_sub_f32 v8, v8, v12
	v_dual_sub_f32 v10, v11, v10 :: v_dual_sub_f32 v11, v14, v15
	;; [unrolled: 1-line block ×3, first 2 shown]
	v_sub_f32_e32 v0, v0, v1
	v_sub_f32_e32 v6, v2, v3
	s_wait_kmcnt 0x0
	v_fma_mixlo_f16 v3, s5, v11, 0
	v_fma_mixlo_f16 v2, s5, v4, 0
	;; [unrolled: 1-line block ×4, first 2 shown]
	s_delay_alu instid0(VALU_DEP_4) | instskip(NEXT) | instid1(VALU_DEP_4)
	v_fma_mixhi_f16 v3, s5, v5, 0
	v_fma_mixhi_f16 v2, s5, v6, 0
	s_delay_alu instid0(VALU_DEP_4) | instskip(NEXT) | instid1(VALU_DEP_4)
	v_fma_mixhi_f16 v1, s5, v10, 0
	v_fma_mixhi_f16 v0, s5, v9, 0
	global_store_b128 v35, v[0:3], s[0:1]
	s_endpgm
	.section	.rodata,"a",@progbits
	.p2align	6, 0x0
	.amdhsa_kernel _Z30fast_hadamard_transform_kernelI37fast_hadamard_transform_kernel_traitsILi256ELi13E6__halfEEv18HadamardParamsBase
		.amdhsa_group_segment_fixed_size 0
		.amdhsa_private_segment_fixed_size 0
		.amdhsa_kernarg_size 312
		.amdhsa_user_sgpr_count 2
		.amdhsa_user_sgpr_dispatch_ptr 0
		.amdhsa_user_sgpr_queue_ptr 0
		.amdhsa_user_sgpr_kernarg_segment_ptr 1
		.amdhsa_user_sgpr_dispatch_id 0
		.amdhsa_user_sgpr_private_segment_size 0
		.amdhsa_wavefront_size32 1
		.amdhsa_uses_dynamic_stack 0
		.amdhsa_enable_private_segment 0
		.amdhsa_system_sgpr_workgroup_id_x 1
		.amdhsa_system_sgpr_workgroup_id_y 0
		.amdhsa_system_sgpr_workgroup_id_z 0
		.amdhsa_system_sgpr_workgroup_info 0
		.amdhsa_system_vgpr_workitem_id 0
		.amdhsa_next_free_vgpr 62
		.amdhsa_next_free_sgpr 18
		.amdhsa_reserve_vcc 1
		.amdhsa_float_round_mode_32 0
		.amdhsa_float_round_mode_16_64 0
		.amdhsa_float_denorm_mode_32 3
		.amdhsa_float_denorm_mode_16_64 3
		.amdhsa_fp16_overflow 0
		.amdhsa_workgroup_processor_mode 1
		.amdhsa_memory_ordered 1
		.amdhsa_forward_progress 1
		.amdhsa_inst_pref_size 64
		.amdhsa_round_robin_scheduling 0
		.amdhsa_exception_fp_ieee_invalid_op 0
		.amdhsa_exception_fp_denorm_src 0
		.amdhsa_exception_fp_ieee_div_zero 0
		.amdhsa_exception_fp_ieee_overflow 0
		.amdhsa_exception_fp_ieee_underflow 0
		.amdhsa_exception_fp_ieee_inexact 0
		.amdhsa_exception_int_div_zero 0
	.end_amdhsa_kernel
	.section	.text._Z30fast_hadamard_transform_kernelI37fast_hadamard_transform_kernel_traitsILi256ELi13E6__halfEEv18HadamardParamsBase,"axG",@progbits,_Z30fast_hadamard_transform_kernelI37fast_hadamard_transform_kernel_traitsILi256ELi13E6__halfEEv18HadamardParamsBase,comdat
.Lfunc_end23:
	.size	_Z30fast_hadamard_transform_kernelI37fast_hadamard_transform_kernel_traitsILi256ELi13E6__halfEEv18HadamardParamsBase, .Lfunc_end23-_Z30fast_hadamard_transform_kernelI37fast_hadamard_transform_kernel_traitsILi256ELi13E6__halfEEv18HadamardParamsBase
                                        ; -- End function
	.set _Z30fast_hadamard_transform_kernelI37fast_hadamard_transform_kernel_traitsILi256ELi13E6__halfEEv18HadamardParamsBase.num_vgpr, 62
	.set _Z30fast_hadamard_transform_kernelI37fast_hadamard_transform_kernel_traitsILi256ELi13E6__halfEEv18HadamardParamsBase.num_agpr, 0
	.set _Z30fast_hadamard_transform_kernelI37fast_hadamard_transform_kernel_traitsILi256ELi13E6__halfEEv18HadamardParamsBase.numbered_sgpr, 18
	.set _Z30fast_hadamard_transform_kernelI37fast_hadamard_transform_kernel_traitsILi256ELi13E6__halfEEv18HadamardParamsBase.num_named_barrier, 0
	.set _Z30fast_hadamard_transform_kernelI37fast_hadamard_transform_kernel_traitsILi256ELi13E6__halfEEv18HadamardParamsBase.private_seg_size, 0
	.set _Z30fast_hadamard_transform_kernelI37fast_hadamard_transform_kernel_traitsILi256ELi13E6__halfEEv18HadamardParamsBase.uses_vcc, 1
	.set _Z30fast_hadamard_transform_kernelI37fast_hadamard_transform_kernel_traitsILi256ELi13E6__halfEEv18HadamardParamsBase.uses_flat_scratch, 0
	.set _Z30fast_hadamard_transform_kernelI37fast_hadamard_transform_kernel_traitsILi256ELi13E6__halfEEv18HadamardParamsBase.has_dyn_sized_stack, 0
	.set _Z30fast_hadamard_transform_kernelI37fast_hadamard_transform_kernel_traitsILi256ELi13E6__halfEEv18HadamardParamsBase.has_recursion, 0
	.set _Z30fast_hadamard_transform_kernelI37fast_hadamard_transform_kernel_traitsILi256ELi13E6__halfEEv18HadamardParamsBase.has_indirect_call, 0
	.section	.AMDGPU.csdata,"",@progbits
; Kernel info:
; codeLenInByte = 8120
; TotalNumSgprs: 20
; NumVgprs: 62
; ScratchSize: 0
; MemoryBound: 0
; FloatMode: 240
; IeeeMode: 1
; LDSByteSize: 0 bytes/workgroup (compile time only)
; SGPRBlocks: 0
; VGPRBlocks: 7
; NumSGPRsForWavesPerEU: 20
; NumVGPRsForWavesPerEU: 62
; Occupancy: 16
; WaveLimiterHint : 0
; COMPUTE_PGM_RSRC2:SCRATCH_EN: 0
; COMPUTE_PGM_RSRC2:USER_SGPR: 2
; COMPUTE_PGM_RSRC2:TRAP_HANDLER: 0
; COMPUTE_PGM_RSRC2:TGID_X_EN: 1
; COMPUTE_PGM_RSRC2:TGID_Y_EN: 0
; COMPUTE_PGM_RSRC2:TGID_Z_EN: 0
; COMPUTE_PGM_RSRC2:TIDIG_COMP_CNT: 0
	.section	.text._Z30fast_hadamard_transform_kernelI37fast_hadamard_transform_kernel_traitsILi256ELi14E6__halfEEv18HadamardParamsBase,"axG",@progbits,_Z30fast_hadamard_transform_kernelI37fast_hadamard_transform_kernel_traitsILi256ELi14E6__halfEEv18HadamardParamsBase,comdat
	.protected	_Z30fast_hadamard_transform_kernelI37fast_hadamard_transform_kernel_traitsILi256ELi14E6__halfEEv18HadamardParamsBase ; -- Begin function _Z30fast_hadamard_transform_kernelI37fast_hadamard_transform_kernel_traitsILi256ELi14E6__halfEEv18HadamardParamsBase
	.globl	_Z30fast_hadamard_transform_kernelI37fast_hadamard_transform_kernel_traitsILi256ELi14E6__halfEEv18HadamardParamsBase
	.p2align	8
	.type	_Z30fast_hadamard_transform_kernelI37fast_hadamard_transform_kernel_traitsILi256ELi14E6__halfEEv18HadamardParamsBase,@function
_Z30fast_hadamard_transform_kernelI37fast_hadamard_transform_kernel_traitsILi256ELi14E6__halfEEv18HadamardParamsBase: ; @_Z30fast_hadamard_transform_kernelI37fast_hadamard_transform_kernel_traitsILi256ELi14E6__halfEEv18HadamardParamsBase
; %bb.0:
	s_clause 0x3
	s_load_b128 s[16:19], s[0:1], 0x10
	s_load_b32 s8, s[0:1], 0x4
	s_load_b128 s[12:15], s[0:1], 0x28
	s_load_b32 s2, s[0:1], 0x44
	v_dual_mov_b32 v5, 0 :: v_dual_lshlrev_b32 v8, 3, v0
	s_mov_b32 s20, ttmp9
	s_ashr_i32 s21, ttmp9, 31
	v_dual_mov_b32 v1, 0 :: v_dual_mov_b32 v2, 0
	v_dual_mov_b32 v3, 0 :: v_dual_mov_b32 v4, 0
	;; [unrolled: 1-line block ×3, first 2 shown]
	v_dual_mov_b32 v10, 0 :: v_dual_lshlrev_b32 v69, 4, v0
	s_wait_kmcnt 0x0
	s_mul_u64 s[6:7], s[16:17], s[20:21]
	v_cmp_gt_u32_e64 s5, s8, v8
	v_mov_b32_e32 v8, 0
	s_lshl_b64 s[6:7], s[6:7], 1
	s_delay_alu instid0(SALU_CYCLE_1)
	s_add_nc_u64 s[10:11], s[12:13], s[6:7]
	s_and_saveexec_b32 s3, s5
	s_cbranch_execz .LBB24_2
; %bb.1:
	global_load_b128 v[2:5], v69, s[10:11]
	s_wait_loadcnt 0x0
	v_lshrrev_b32_e32 v7, 16, v2
	v_lshrrev_b32_e32 v9, 16, v3
	;; [unrolled: 1-line block ×4, first 2 shown]
	v_cvt_f32_f16_e32 v8, v2
	v_cvt_f32_f16_e32 v6, v3
	;; [unrolled: 1-line block ×8, first 2 shown]
.LBB24_2:
	s_or_b32 exec_lo, exec_lo, s3
	s_and_b32 s9, 0xffff, s2
	v_dual_mov_b32 v12, 0 :: v_dual_mov_b32 v11, 0
	s_wait_alu 0xfffe
	v_dual_mov_b32 v9, 0 :: v_dual_add_nc_u32 v16, s9, v0
	v_dual_mov_b32 v13, 0 :: v_dual_mov_b32 v18, 0
	s_delay_alu instid0(VALU_DEP_2) | instskip(SKIP_1) | instid1(VALU_DEP_2)
	v_dual_mov_b32 v14, 0 :: v_dual_lshlrev_b32 v15, 3, v16
	v_lshlrev_b32_e32 v65, 4, v16
	v_cmp_gt_u32_e32 vcc_lo, s8, v15
	v_mov_b32_e32 v15, 0
	s_and_saveexec_b32 s2, vcc_lo
	s_cbranch_execz .LBB24_4
; %bb.3:
	global_load_b128 v[17:20], v65, s[10:11]
	s_wait_loadcnt 0x0
	v_lshrrev_b32_e32 v1, 16, v17
	v_lshrrev_b32_e32 v12, 16, v18
	;; [unrolled: 1-line block ×4, first 2 shown]
	v_cvt_f32_f16_e32 v15, v17
	v_cvt_f32_f16_e32 v13, v18
	;; [unrolled: 1-line block ×8, first 2 shown]
.LBB24_4:
	s_or_b32 exec_lo, exec_lo, s2
	v_dual_mov_b32 v16, 0 :: v_dual_add_nc_u32 v25, s9, v16
	v_mov_b32_e32 v19, 0
	v_dual_mov_b32 v17, 0 :: v_dual_mov_b32 v20, 0
	s_delay_alu instid0(VALU_DEP_3) | instskip(SKIP_2) | instid1(VALU_DEP_3)
	v_dual_mov_b32 v21, 0 :: v_dual_lshlrev_b32 v24, 3, v25
	v_dual_mov_b32 v22, 0 :: v_dual_mov_b32 v23, 0
	v_lshlrev_b32_e32 v64, 4, v25
	v_cmp_gt_u32_e64 s2, s8, v24
	v_mov_b32_e32 v26, 0
	v_mov_b32_e32 v24, 0
	s_and_saveexec_b32 s3, s2
	s_cbranch_execz .LBB24_6
; %bb.5:
	global_load_b128 v[26:29], v64, s[10:11]
	s_wait_loadcnt 0x0
	v_lshrrev_b32_e32 v19, 16, v26
	v_lshrrev_b32_e32 v21, 16, v27
	v_lshrrev_b32_e32 v30, 16, v28
	v_lshrrev_b32_e32 v31, 16, v29
	v_cvt_f32_f16_e32 v24, v26
	v_cvt_f32_f16_e32 v22, v27
	v_cvt_f32_f16_e32 v20, v28
	v_cvt_f32_f16_e32 v17, v29
	v_cvt_f32_f16_e32 v26, v19
	v_cvt_f32_f16_e32 v23, v21
	v_cvt_f32_f16_e32 v21, v30
	v_cvt_f32_f16_e32 v19, v31
.LBB24_6:
	s_or_b32 exec_lo, exec_lo, s3
	v_dual_mov_b32 v25, 0 :: v_dual_add_nc_u32 v32, s9, v25
	v_dual_mov_b32 v28, 0 :: v_dual_mov_b32 v27, 0
	v_dual_mov_b32 v29, 0 :: v_dual_mov_b32 v34, 0
	s_delay_alu instid0(VALU_DEP_3) | instskip(SKIP_1) | instid1(VALU_DEP_2)
	v_dual_mov_b32 v30, 0 :: v_dual_lshlrev_b32 v31, 3, v32
	v_lshlrev_b32_e32 v66, 4, v32
	v_cmp_gt_u32_e64 s3, s8, v31
	v_mov_b32_e32 v31, 0
	s_and_saveexec_b32 s4, s3
	s_cbranch_execz .LBB24_8
; %bb.7:
	global_load_b128 v[33:36], v66, s[10:11]
	s_wait_loadcnt 0x0
	v_lshrrev_b32_e32 v16, 16, v33
	v_lshrrev_b32_e32 v28, 16, v34
	;; [unrolled: 1-line block ×4, first 2 shown]
	v_cvt_f32_f16_e32 v31, v33
	v_cvt_f32_f16_e32 v29, v34
	;; [unrolled: 1-line block ×8, first 2 shown]
.LBB24_8:
	s_or_b32 exec_lo, exec_lo, s4
	v_dual_mov_b32 v32, 0 :: v_dual_add_nc_u32 v41, s9, v32
	v_mov_b32_e32 v35, 0
	v_dual_mov_b32 v33, 0 :: v_dual_mov_b32 v36, 0
	s_delay_alu instid0(VALU_DEP_3) | instskip(SKIP_2) | instid1(VALU_DEP_3)
	v_dual_mov_b32 v37, 0 :: v_dual_lshlrev_b32 v40, 3, v41
	v_dual_mov_b32 v38, 0 :: v_dual_mov_b32 v39, 0
	v_dual_mov_b32 v42, 0 :: v_dual_lshlrev_b32 v67, 4, v41
	v_cmp_gt_u32_e64 s4, s8, v40
	v_mov_b32_e32 v40, 0
	s_and_saveexec_b32 s6, s4
	s_cbranch_execz .LBB24_10
; %bb.9:
	global_load_b128 v[42:45], v67, s[10:11]
	s_wait_loadcnt 0x0
	v_lshrrev_b32_e32 v35, 16, v42
	v_lshrrev_b32_e32 v37, 16, v43
	;; [unrolled: 1-line block ×4, first 2 shown]
	v_cvt_f32_f16_e32 v40, v42
	v_cvt_f32_f16_e32 v38, v43
	;; [unrolled: 1-line block ×8, first 2 shown]
.LBB24_10:
	s_or_b32 exec_lo, exec_lo, s6
	v_dual_mov_b32 v41, 0 :: v_dual_add_nc_u32 v48, s9, v41
	v_dual_mov_b32 v44, 0 :: v_dual_mov_b32 v43, 0
	v_dual_mov_b32 v45, 0 :: v_dual_mov_b32 v50, 0
	s_delay_alu instid0(VALU_DEP_3) | instskip(SKIP_1) | instid1(VALU_DEP_2)
	v_dual_mov_b32 v46, 0 :: v_dual_lshlrev_b32 v47, 3, v48
	v_lshlrev_b32_e32 v68, 4, v48
	v_cmp_gt_u32_e64 s6, s8, v47
	v_mov_b32_e32 v47, 0
	s_and_saveexec_b32 s7, s6
	s_cbranch_execz .LBB24_12
; %bb.11:
	global_load_b128 v[49:52], v68, s[10:11]
	s_wait_loadcnt 0x0
	v_lshrrev_b32_e32 v32, 16, v49
	v_lshrrev_b32_e32 v44, 16, v50
	;; [unrolled: 1-line block ×4, first 2 shown]
	v_cvt_f32_f16_e32 v47, v49
	v_cvt_f32_f16_e32 v45, v50
	;; [unrolled: 1-line block ×8, first 2 shown]
.LBB24_12:
	s_or_b32 exec_lo, exec_lo, s7
	v_dual_mov_b32 v48, 0 :: v_dual_add_nc_u32 v57, s9, v48
	v_mov_b32_e32 v51, 0
	v_dual_mov_b32 v49, 0 :: v_dual_mov_b32 v52, 0
	s_delay_alu instid0(VALU_DEP_3) | instskip(SKIP_2) | instid1(VALU_DEP_3)
	v_dual_mov_b32 v53, 0 :: v_dual_lshlrev_b32 v56, 3, v57
	v_dual_mov_b32 v54, 0 :: v_dual_mov_b32 v55, 0
	v_lshlrev_b32_e32 v70, 4, v57
	v_cmp_gt_u32_e64 s7, s8, v56
	v_mov_b32_e32 v58, 0
	v_mov_b32_e32 v56, 0
	s_and_saveexec_b32 s12, s7
	s_cbranch_execz .LBB24_14
; %bb.13:
	global_load_b128 v[58:61], v70, s[10:11]
	s_wait_loadcnt 0x0
	v_lshrrev_b32_e32 v51, 16, v58
	v_lshrrev_b32_e32 v53, 16, v59
	;; [unrolled: 1-line block ×4, first 2 shown]
	v_cvt_f32_f16_e32 v56, v58
	v_cvt_f32_f16_e32 v54, v59
	;; [unrolled: 1-line block ×8, first 2 shown]
.LBB24_14:
	s_or_b32 exec_lo, exec_lo, s12
	v_dual_mov_b32 v60, 0 :: v_dual_add_nc_u32 v63, s9, v57
	v_dual_mov_b32 v57, 0 :: v_dual_mov_b32 v62, 0
	v_dual_mov_b32 v59, 0 :: v_dual_mov_b32 v72, 0
	s_delay_alu instid0(VALU_DEP_3) | instskip(SKIP_3) | instid1(VALU_DEP_4)
	v_lshlrev_b32_e32 v73, 3, v63
	v_mov_b32_e32 v61, 0
	v_lshlrev_b32_e32 v71, 4, v63
	v_mov_b32_e32 v63, 0
	v_cmp_gt_u32_e64 s8, s8, v73
	s_and_saveexec_b32 s9, s8
	s_cbranch_execz .LBB24_16
; %bb.15:
	global_load_b128 v[72:75], v71, s[10:11]
	s_wait_loadcnt 0x0
	v_lshrrev_b32_e32 v48, 16, v72
	v_lshrrev_b32_e32 v60, 16, v73
	;; [unrolled: 1-line block ×4, first 2 shown]
	v_cvt_f32_f16_e32 v63, v72
	v_cvt_f32_f16_e32 v61, v73
	;; [unrolled: 1-line block ×8, first 2 shown]
.LBB24_16:
	s_wait_alu 0xfffe
	s_or_b32 exec_lo, exec_lo, s9
	v_dual_add_f32 v73, v10, v8 :: v_dual_sub_f32 v8, v8, v10
	v_dual_add_f32 v10, v18, v15 :: v_dual_sub_f32 v15, v15, v18
	v_add_f32_e32 v18, v26, v24
	v_sub_f32_e32 v24, v24, v26
	v_dual_add_f32 v26, v34, v31 :: v_dual_sub_f32 v31, v31, v34
	v_add_f32_e32 v34, v42, v40
	v_sub_f32_e32 v40, v40, v42
	;; [unrolled: 3-line block ×4, first 2 shown]
	v_add_f32_e32 v7, v14, v13
	v_sub_f32_e32 v13, v13, v14
	v_add_f32_e32 v14, v23, v22
	v_sub_f32_e32 v22, v22, v23
	;; [unrolled: 2-line block ×14, first 2 shown]
	v_add_f32_e32 v53, v60, v59
	v_dual_sub_f32 v59, v59, v60 :: v_dual_add_f32 v60, v2, v3
	v_dual_sub_f32 v2, v2, v3 :: v_dual_add_f32 v3, v1, v9
	v_sub_f32_e32 v1, v9, v1
	v_add_f32_e32 v9, v19, v17
	v_sub_f32_e32 v17, v17, v19
	v_dual_add_f32 v19, v16, v25 :: v_dual_sub_f32 v16, v25, v16
	v_add_f32_e32 v25, v35, v33
	v_sub_f32_e32 v33, v33, v35
	v_dual_add_f32 v35, v32, v41 :: v_dual_sub_f32 v32, v41, v32
	;; [unrolled: 3-line block ×3, first 2 shown]
	v_dual_add_f32 v57, v72, v73 :: v_dual_sub_f32 v72, v73, v72
	v_add_f32_e32 v73, v7, v10
	v_sub_f32_e32 v7, v10, v7
	v_add_f32_e32 v10, v14, v18
	v_sub_f32_e32 v14, v18, v14
	v_dual_add_f32 v18, v23, v26 :: v_dual_sub_f32 v23, v26, v23
	v_add_f32_e32 v26, v30, v34
	v_sub_f32_e32 v30, v34, v30
	v_dual_add_f32 v34, v39, v42 :: v_dual_sub_f32 v39, v42, v39
	;; [unrolled: 3-line block ×4, first 2 shown]
	v_dual_add_f32 v15, v22, v24 :: v_dual_sub_f32 v22, v24, v22
	v_dual_add_f32 v24, v29, v31 :: v_dual_sub_f32 v29, v31, v29
	;; [unrolled: 1-line block ×6, first 2 shown]
	v_add_f32_e32 v63, v62, v60
	v_sub_f32_e32 v60, v62, v60
	v_dual_add_f32 v62, v3, v5 :: v_dual_sub_f32 v3, v5, v3
	v_add_f32_e32 v5, v9, v12
	v_sub_f32_e32 v9, v12, v9
	v_dual_add_f32 v12, v19, v21 :: v_dual_sub_f32 v19, v21, v19
	;; [unrolled: 3-line block ×5, first 2 shown]
	v_add_f32_e32 v1, v17, v20
	v_sub_f32_e32 v17, v20, v17
	v_add_f32_e32 v20, v16, v27
	v_sub_f32_e32 v16, v27, v16
	;; [unrolled: 2-line block ×5, first 2 shown]
	v_add_f32_e32 v52, v48, v59
	v_dual_sub_f32 v48, v59, v48 :: v_dual_add_f32 v59, v57, v63
	v_sub_f32_e32 v57, v57, v63
	v_dual_add_f32 v63, v62, v73 :: v_dual_sub_f32 v62, v73, v62
	v_add_f32_e32 v73, v5, v10
	v_dual_sub_f32 v5, v10, v5 :: v_dual_add_f32 v10, v12, v18
	v_sub_f32_e32 v12, v18, v12
	v_dual_add_f32 v18, v21, v26 :: v_dual_sub_f32 v21, v26, v21
	v_add_f32_e32 v26, v28, v34
	v_sub_f32_e32 v28, v34, v28
	v_dual_add_f32 v34, v37, v42 :: v_dual_sub_f32 v37, v42, v37
	v_add_f32_e32 v42, v44, v50
	v_sub_f32_e32 v44, v50, v44
	v_add_f32_e32 v50, v58, v53
	v_dual_sub_f32 v53, v58, v53 :: v_dual_add_f32 v58, v4, v8
	v_sub_f32_e32 v4, v8, v4
	v_add_f32_e32 v8, v1, v15
	v_dual_add_f32 v74, v20, v24 :: v_dual_add_f32 v75, v9, v14
	v_dual_sub_f32 v20, v24, v20 :: v_dual_sub_f32 v9, v14, v9
	v_add_f32_e32 v24, v27, v31
	v_sub_f32_e32 v27, v31, v27
	v_add_f32_e32 v31, v36, v40
	v_sub_f32_e32 v36, v40, v36
	;; [unrolled: 2-line block ×6, first 2 shown]
	v_mbcnt_lo_u32_b32 v3, -1, 0
	v_sub_f32_e32 v15, v15, v1
	s_load_b32 s12, s[0:1], 0x20
	v_add_f32_e32 v14, v19, v23
	v_sub_f32_e32 v19, v23, v19
	v_xor_b32_e32 v1, 1, v3
	v_add_f32_e32 v23, v25, v30
	v_sub_f32_e32 v25, v30, v25
	v_add_f32_e32 v78, v16, v29
	v_sub_f32_e32 v16, v29, v16
	v_cmp_gt_i32_e64 s0, 32, v1
	v_add_f32_e32 v29, v33, v38
	v_sub_f32_e32 v33, v38, v33
	s_barrier_signal -1
	s_delay_alu instid0(VALU_DEP_3)
	v_cndmask_b32_e64 v1, v3, v1, s0
	v_add_f32_e32 v30, v35, v39
	v_sub_f32_e32 v35, v39, v35
	v_add_f32_e32 v39, v41, v46
	v_dual_sub_f32 v41, v46, v41 :: v_dual_add_f32 v46, v51, v55
	v_sub_f32_e32 v51, v55, v51
	v_add_f32_e32 v55, v6, v2
	v_sub_f32_e32 v2, v6, v2
	v_dual_add_f32 v6, v11, v13 :: v_dual_sub_f32 v11, v13, v11
	v_add_f32_e32 v13, v17, v22
	v_dual_sub_f32 v17, v22, v17 :: v_dual_and_b32 v22, 1, v0
	v_lshlrev_b32_e32 v1, 2, v1
	s_barrier_wait -1
	global_inv scope:SCOPE_SE
	v_cmp_eq_u32_e64 s1, 0, v22
	ds_bpermute_b32 v76, v1, v59
	ds_bpermute_b32 v77, v1, v50
	v_add_f32_e32 v22, v32, v45
	v_sub_f32_e32 v32, v45, v32
	s_wait_alu 0xf1ff
	v_cndmask_b32_e64 v45, -v59, v59, s1
	ds_bpermute_b32 v59, v1, v56
	ds_bpermute_b32 v82, v1, v60
	;; [unrolled: 1-line block ×3, first 2 shown]
	v_cndmask_b32_e64 v50, -v50, v50, s1
	ds_bpermute_b32 v79, v1, v55
	ds_bpermute_b32 v80, v1, v57
	v_cndmask_b32_e64 v56, -v56, v56, s1
	v_cndmask_b32_e64 v55, -v55, v55, s1
	v_dual_add_f32 v38, v49, v54 :: v_dual_sub_f32 v49, v54, v49
	v_cndmask_b32_e64 v57, -v57, v57, s1
	v_add_f32_e32 v54, v48, v61
	v_cndmask_b32_e64 v60, -v60, v60, s1
	v_sub_f32_e32 v48, v61, v48
	ds_bpermute_b32 v61, v1, v2
	s_wait_dscnt 0x7
	v_add_f32_e32 v45, v45, v76
	v_cndmask_b32_e64 v53, -v53, v53, s1
	ds_bpermute_b32 v76, v1, v63
	ds_bpermute_b32 v83, v1, v72
	;; [unrolled: 1-line block ×3, first 2 shown]
	s_wait_dscnt 0x8
	v_add_f32_e32 v56, v56, v59
	s_wait_dscnt 0x7
	v_add_f32_e32 v59, v60, v82
	v_cndmask_b32_e64 v60, -v63, v63, s1
	v_cndmask_b32_e64 v63, -v72, v72, s1
	v_add_f32_e32 v50, v50, v77
	ds_bpermute_b32 v77, v1, v58
	s_wait_dscnt 0x7
	v_add_f32_e32 v53, v53, v81
	ds_bpermute_b32 v72, v1, v62
	ds_bpermute_b32 v81, v1, v11
	v_cndmask_b32_e64 v2, -v2, v2, s1
	s_wait_dscnt 0x8
	v_add_f32_e32 v55, v55, v79
	s_wait_dscnt 0x7
	v_add_f32_e32 v57, v57, v80
	v_cndmask_b32_e64 v58, -v58, v58, s1
	ds_bpermute_b32 v79, v1, v4
	ds_bpermute_b32 v80, v1, v7
	;; [unrolled: 1-line block ×3, first 2 shown]
	s_wait_dscnt 0x8
	v_dual_add_f32 v61, v2, v61 :: v_dual_add_f32 v60, v60, v76
	v_cndmask_b32_e64 v2, -v62, v62, s1
	v_cndmask_b32_e64 v62, -v73, v73, s1
	ds_bpermute_b32 v73, v1, v8
	v_cndmask_b32_e64 v6, -v6, v6, s1
	v_cndmask_b32_e64 v7, -v7, v7, s1
	;; [unrolled: 1-line block ×3, first 2 shown]
	s_wait_dscnt 0x6
	v_dual_add_f32 v63, v63, v83 :: v_dual_add_f32 v58, v58, v77
	ds_bpermute_b32 v77, v1, v13
	s_wait_dscnt 0x5
	v_dual_add_f32 v6, v6, v84 :: v_dual_add_f32 v11, v11, v81
	ds_bpermute_b32 v76, v1, v75
	ds_bpermute_b32 v83, v1, v5
	;; [unrolled: 1-line block ×3, first 2 shown]
	v_cndmask_b32_e64 v13, -v13, v13, s1
	v_add_f32_e32 v72, v2, v72
	v_cndmask_b32_e64 v2, -v8, v8, s1
	v_cndmask_b32_e64 v8, -v75, v75, s1
	ds_bpermute_b32 v75, v1, v9
	ds_bpermute_b32 v81, v1, v74
	v_cndmask_b32_e64 v4, -v4, v4, s1
	s_wait_dscnt 0x8
	v_add_f32_e32 v7, v7, v80
	ds_bpermute_b32 v80, v1, v10
	s_wait_dscnt 0x7
	v_add_f32_e32 v73, v2, v73
	v_cndmask_b32_e64 v2, -v9, v9, s1
	v_add_f32_e32 v4, v4, v79
	ds_bpermute_b32 v79, v1, v17
	v_cndmask_b32_e64 v9, -v17, v17, s1
	v_cndmask_b32_e64 v17, -v74, v74, s1
	ds_bpermute_b32 v74, v1, v78
	v_cndmask_b32_e64 v5, -v5, v5, s1
	v_cndmask_b32_e64 v15, -v15, v15, s1
	s_wait_dscnt 0x8
	v_add_f32_e32 v13, v13, v77
	ds_bpermute_b32 v77, v1, v20
	s_wait_dscnt 0x7
	v_dual_add_f32 v62, v62, v82 :: v_dual_add_f32 v5, v5, v83
	ds_bpermute_b32 v82, v1, v14
	s_wait_dscnt 0x6
	v_dual_add_f32 v8, v8, v76 :: v_dual_add_f32 v75, v2, v75
	v_cndmask_b32_e64 v14, -v14, v14, s1
	v_add_f32_e32 v15, v15, v84
	ds_bpermute_b32 v76, v1, v12
	ds_bpermute_b32 v83, v1, v19
	;; [unrolled: 1-line block ×3, first 2 shown]
	v_cndmask_b32_e64 v2, -v78, v78, s1
	s_wait_dscnt 0x8
	v_add_f32_e32 v17, v17, v81
	ds_bpermute_b32 v78, v1, v18
	ds_bpermute_b32 v81, v1, v29
	v_cndmask_b32_e64 v10, -v10, v10, s1
	s_wait_dscnt 0x8
	v_add_f32_e32 v9, v9, v79
	v_cndmask_b32_e64 v20, -v20, v20, s1
	ds_bpermute_b32 v79, v1, v24
	s_wait_dscnt 0x8
	v_add_f32_e32 v74, v2, v74
	v_add_f32_e32 v10, v10, v80
	ds_bpermute_b32 v80, v1, v23
	v_cndmask_b32_e64 v2, -v18, v18, s1
	v_cndmask_b32_e64 v18, -v24, v24, s1
	;; [unrolled: 1-line block ×3, first 2 shown]
	ds_bpermute_b32 v29, v1, v27
	v_cndmask_b32_e64 v12, -v12, v12, s1
	v_cndmask_b32_e64 v19, -v19, v19, s1
	;; [unrolled: 1-line block ×4, first 2 shown]
	s_wait_dscnt 0x9
	v_add_f32_e32 v20, v20, v77
	ds_bpermute_b32 v77, v1, v33
	s_wait_dscnt 0x9
	v_add_f32_e32 v14, v14, v82
	ds_bpermute_b32 v82, v1, v21
	s_wait_dscnt 0x8
	v_dual_add_f32 v12, v12, v76 :: v_dual_add_f32 v19, v19, v83
	v_cndmask_b32_e64 v21, -v21, v21, s1
	s_wait_dscnt 0x7
	v_add_f32_e32 v16, v16, v84
	ds_bpermute_b32 v76, v1, v25
	ds_bpermute_b32 v83, v1, v26
	;; [unrolled: 1-line block ×3, first 2 shown]
	v_cndmask_b32_e64 v25, -v25, v25, s1
	s_wait_dscnt 0x9
	v_add_f32_e32 v78, v2, v78
	v_cndmask_b32_e64 v2, -v27, v27, s1
	v_cndmask_b32_e64 v27, -v33, v33, s1
	;; [unrolled: 1-line block ×3, first 2 shown]
	s_wait_dscnt 0x8
	v_add_f32_e32 v24, v24, v81
	ds_bpermute_b32 v33, v1, v30
	ds_bpermute_b32 v81, v1, v36
	s_wait_dscnt 0x8
	v_dual_add_f32 v18, v18, v79 :: v_dual_add_f32 v23, v23, v80
	ds_bpermute_b32 v79, v1, v22
	ds_bpermute_b32 v80, v1, v28
	v_cndmask_b32_e64 v28, -v28, v28, s1
	s_wait_dscnt 0x9
	v_add_f32_e32 v29, v2, v29
	v_cndmask_b32_e64 v2, -v30, v30, s1
	v_cndmask_b32_e64 v30, -v36, v36, s1
	ds_bpermute_b32 v36, v1, v32
	v_cndmask_b32_e64 v26, -v26, v26, s1
	s_wait_dscnt 0x9
	v_add_f32_e32 v27, v27, v77
	ds_bpermute_b32 v77, v1, v40
	s_wait_dscnt 0x9
	v_add_f32_e32 v21, v21, v82
	ds_bpermute_b32 v82, v1, v35
	s_wait_dscnt 0x9
	v_add_f32_e32 v25, v25, v76
	s_wait_dscnt 0x7
	v_add_f32_e32 v31, v31, v84
	v_cndmask_b32_e64 v35, -v35, v35, s1
	v_add_f32_e32 v26, v26, v83
	ds_bpermute_b32 v76, v1, v34
	ds_bpermute_b32 v83, v1, v39
	;; [unrolled: 1-line block ×3, first 2 shown]
	s_wait_dscnt 0x9
	v_add_f32_e32 v33, v2, v33
	v_cndmask_b32_e64 v2, -v32, v32, s1
	v_cndmask_b32_e64 v32, -v34, v34, s1
	ds_bpermute_b32 v34, v1, v37
	v_cndmask_b32_e64 v39, -v39, v39, s1
	s_wait_dscnt 0x9
	v_add_f32_e32 v30, v30, v81
	ds_bpermute_b32 v81, v1, v49
	v_cndmask_b32_e64 v22, -v22, v22, s1
	s_wait_dscnt 0x8
	v_add_f32_e32 v28, v28, v80
	ds_bpermute_b32 v80, v1, v41
	v_cndmask_b32_e64 v40, -v40, v40, s1
	v_cndmask_b32_e64 v41, -v41, v41, s1
	v_add_f32_e32 v22, v22, v79
	ds_bpermute_b32 v79, v1, v43
	v_cndmask_b32_e64 v43, -v43, v43, s1
	s_wait_dscnt 0x9
	v_add_f32_e32 v36, v2, v36
	v_cndmask_b32_e64 v2, -v37, v37, s1
	ds_bpermute_b32 v37, v1, v47
	v_cndmask_b32_e64 v38, -v38, v38, s1
	s_wait_dscnt 0x9
	v_add_f32_e32 v40, v40, v77
	v_cndmask_b32_e64 v49, -v49, v49, s1
	v_xor_b32_e32 v77, 2, v3
	s_wait_dscnt 0x8
	v_add_f32_e32 v35, v35, v82
	ds_bpermute_b32 v82, v1, v42
	s_wait_dscnt 0x8
	v_add_f32_e32 v32, v32, v76
	s_wait_dscnt 0x4
	v_dual_add_f32 v38, v38, v84 :: v_dual_add_f32 v49, v49, v81
	ds_bpermute_b32 v76, v1, v46
	ds_bpermute_b32 v81, v1, v51
	v_cmp_gt_i32_e64 s0, 32, v77
	v_cndmask_b32_e64 v51, -v51, v51, s1
	v_add_f32_e32 v34, v2, v34
	v_cndmask_b32_e64 v2, -v47, v47, s1
	ds_bpermute_b32 v47, v1, v54
	s_wait_alu 0xf1ff
	v_cndmask_b32_e64 v77, v3, v77, s0
	s_wait_dscnt 0x5
	v_add_f32_e32 v43, v43, v79
	ds_bpermute_b32 v79, v1, v44
	v_cndmask_b32_e64 v54, -v54, v54, s1
	v_cndmask_b32_e64 v44, -v44, v44, s1
	s_wait_dscnt 0x5
	v_add_f32_e32 v37, v2, v37
	v_lshlrev_b32_e32 v2, 2, v77
	v_and_b32_e32 v77, 2, v0
	v_cndmask_b32_e64 v42, -v42, v42, s1
	v_add_f32_e32 v41, v41, v80
	v_cndmask_b32_e64 v46, -v46, v46, s1
	ds_bpermute_b32 v80, v1, v52
	v_cmp_eq_u32_e64 s9, 0, v77
	v_add_f32_e32 v39, v39, v83
	v_cndmask_b32_e64 v52, -v52, v52, s1
	s_wait_dscnt 0x3
	v_add_f32_e32 v51, v51, v81
	s_wait_dscnt 0x2
	v_add_f32_e32 v47, v54, v47
	ds_bpermute_b32 v83, v2, v50
	ds_bpermute_b32 v85, v2, v55
	s_wait_alu 0xf1ff
	v_cndmask_b32_e64 v55, -v55, v55, s9
	v_add_f32_e32 v42, v42, v82
	ds_bpermute_b32 v82, v2, v45
	v_cndmask_b32_e64 v45, -v45, v45, s9
	v_add_f32_e32 v46, v46, v76
	ds_bpermute_b32 v76, v1, v48
	ds_bpermute_b32 v84, v2, v56
	s_wait_dscnt 0x6
	v_add_f32_e32 v44, v44, v79
	v_cndmask_b32_e64 v48, -v48, v48, s1
	v_cndmask_b32_e64 v50, -v50, v50, s9
	;; [unrolled: 1-line block ×3, first 2 shown]
	ds_bpermute_b32 v56, v2, v57
	ds_bpermute_b32 v77, v2, v53
	;; [unrolled: 1-line block ×3, first 2 shown]
	v_cndmask_b32_e64 v53, -v53, v53, s9
	s_wait_dscnt 0x8
	v_add_f32_e32 v52, v52, v80
	ds_bpermute_b32 v80, v2, v61
	ds_bpermute_b32 v81, v2, v60
	v_cndmask_b32_e64 v59, -v59, v59, s9
	v_cndmask_b32_e64 v61, -v61, v61, s9
	s_wait_dscnt 0x9
	v_add_f32_e32 v50, v50, v83
	ds_bpermute_b32 v83, v2, v6
	s_wait_dscnt 0x8
	v_add_f32_e32 v45, v45, v82
	ds_bpermute_b32 v82, v2, v63
	v_cndmask_b32_e64 v57, -v57, v57, s9
	s_wait_dscnt 0x8
	v_add_f32_e32 v48, v48, v76
	ds_bpermute_b32 v76, v2, v58
	v_cndmask_b32_e64 v60, -v60, v60, s9
	v_cndmask_b32_e64 v58, -v58, v58, s9
	;; [unrolled: 1-line block ×3, first 2 shown]
	v_add_f32_e32 v55, v55, v85
	ds_bpermute_b32 v85, v2, v4
	s_wait_dscnt 0x7
	v_add_f32_e32 v53, v53, v77
	ds_bpermute_b32 v77, v2, v11
	v_cndmask_b32_e64 v11, -v11, v11, s9
	s_wait_dscnt 0x7
	v_dual_add_f32 v56, v57, v56 :: v_dual_add_f32 v57, v59, v79
	s_wait_dscnt 0x6
	v_add_f32_e32 v59, v61, v80
	v_cndmask_b32_e64 v61, -v63, v63, s9
	v_add_f32_e32 v54, v54, v84
	ds_bpermute_b32 v84, v2, v72
	v_cndmask_b32_e64 v63, -v72, v72, s9
	s_wait_dscnt 0x6
	v_add_f32_e32 v60, v60, v81
	ds_bpermute_b32 v72, v2, v7
	ds_bpermute_b32 v79, v2, v62
	;; [unrolled: 1-line block ×4, first 2 shown]
	s_wait_dscnt 0x8
	v_add_f32_e32 v61, v61, v82
	v_cndmask_b32_e64 v7, -v7, v7, s9
	v_add_f32_e32 v6, v6, v83
	ds_bpermute_b32 v82, v2, v5
	ds_bpermute_b32 v83, v2, v15
	v_cndmask_b32_e64 v5, -v5, v5, s9
	s_wait_dscnt 0x9
	v_add_f32_e32 v58, v58, v76
	ds_bpermute_b32 v76, v2, v13
	v_cndmask_b32_e64 v4, -v4, v4, s9
	v_cndmask_b32_e64 v62, -v62, v62, s9
	;; [unrolled: 1-line block ×4, first 2 shown]
	s_wait_dscnt 0x8
	v_add_f32_e32 v11, v11, v77
	s_wait_dscnt 0x7
	v_add_f32_e32 v63, v63, v84
	ds_bpermute_b32 v84, v2, v75
	v_cndmask_b32_e64 v13, -v13, v13, s9
	v_cndmask_b32_e64 v15, -v15, v15, s9
	ds_bpermute_b32 v77, v2, v17
	v_add_f32_e32 v4, v4, v85
	ds_bpermute_b32 v85, v2, v9
	s_wait_dscnt 0x9
	v_add_f32_e32 v7, v7, v72
	s_wait_dscnt 0x7
	v_add_f32_e32 v72, v73, v80
	v_cndmask_b32_e64 v73, -v75, v75, s9
	v_add_f32_e32 v62, v62, v79
	ds_bpermute_b32 v75, v2, v10
	ds_bpermute_b32 v79, v2, v14
	;; [unrolled: 1-line block ×3, first 2 shown]
	s_wait_dscnt 0x6
	v_add_f32_e32 v13, v13, v76
	v_add_f32_e32 v5, v5, v82
	v_add_f32_e32 v15, v15, v83
	ds_bpermute_b32 v76, v2, v20
	ds_bpermute_b32 v82, v2, v19
	;; [unrolled: 1-line block ×3, first 2 shown]
	v_cndmask_b32_e64 v19, -v19, v19, s9
	v_add_f32_e32 v8, v8, v81
	ds_bpermute_b32 v81, v2, v12
	v_cndmask_b32_e64 v17, -v17, v17, s9
	v_cndmask_b32_e64 v9, -v9, v9, s9
	s_wait_dscnt 0x9
	v_add_f32_e32 v73, v73, v84
	v_cndmask_b32_e64 v10, -v10, v10, s9
	v_cndmask_b32_e64 v14, -v14, v14, s9
	;; [unrolled: 1-line block ×4, first 2 shown]
	ds_bpermute_b32 v84, v2, v78
	s_wait_dscnt 0x6
	v_dual_add_f32 v17, v17, v77 :: v_dual_add_f32 v14, v14, v79
	v_cndmask_b32_e64 v20, -v20, v20, s9
	v_cndmask_b32_e64 v16, -v16, v16, s9
	ds_bpermute_b32 v77, v2, v23
	v_dual_add_f32 v9, v9, v85 :: v_dual_add_f32 v10, v10, v75
	ds_bpermute_b32 v85, v2, v18
	v_cndmask_b32_e64 v75, -v78, v78, s9
	ds_bpermute_b32 v78, v2, v24
	ds_bpermute_b32 v79, v2, v21
	s_wait_dscnt 0x5
	v_add_f32_e32 v12, v12, v81
	ds_bpermute_b32 v81, v2, v25
	v_add_f32_e32 v20, v20, v76
	v_cndmask_b32_e64 v25, -v25, v25, s9
	v_add_f32_e32 v76, v16, v83
	v_cndmask_b32_e64 v16, -v23, v23, s9
	v_add_f32_e32 v74, v74, v80
	ds_bpermute_b32 v80, v2, v29
	v_cndmask_b32_e64 v23, -v24, v24, s9
	v_cndmask_b32_e64 v24, -v29, v29, s9
	ds_bpermute_b32 v29, v2, v27
	v_cndmask_b32_e64 v18, -v18, v18, s9
	s_wait_dscnt 0x7
	v_add_f32_e32 v75, v75, v84
	v_cndmask_b32_e64 v21, -v21, v21, s9
	ds_bpermute_b32 v83, v2, v31
	ds_bpermute_b32 v84, v2, v33
	s_wait_dscnt 0x8
	v_add_f32_e32 v77, v16, v77
	v_cndmask_b32_e64 v16, -v27, v27, s9
	v_cndmask_b32_e64 v27, -v31, v31, s9
	v_cndmask_b32_e64 v31, -v33, v33, s9
	ds_bpermute_b32 v33, v2, v28
	s_wait_dscnt 0x8
	v_dual_add_f32 v19, v19, v82 :: v_dual_add_f32 v18, v18, v85
	s_wait_dscnt 0x6
	v_add_f32_e32 v21, v21, v79
	ds_bpermute_b32 v82, v2, v26
	ds_bpermute_b32 v85, v2, v22
	v_add_f32_e32 v23, v23, v78
	v_cndmask_b32_e64 v26, -v26, v26, s9
	ds_bpermute_b32 v78, v2, v30
	ds_bpermute_b32 v79, v2, v35
	s_wait_dscnt 0x7
	v_add_f32_e32 v29, v16, v29
	v_cndmask_b32_e64 v16, -v28, v28, s9
	v_cndmask_b32_e64 v28, -v30, v30, s9
	;; [unrolled: 1-line block ×3, first 2 shown]
	ds_bpermute_b32 v35, v2, v40
	v_cndmask_b32_e64 v22, -v22, v22, s9
	s_wait_dscnt 0x7
	v_dual_add_f32 v24, v24, v80 :: v_dual_add_f32 v27, v27, v83
	v_add_f32_e32 v25, v25, v81
	ds_bpermute_b32 v80, v2, v36
	s_wait_dscnt 0x6
	v_add_f32_e32 v33, v16, v33
	v_cndmask_b32_e64 v16, -v40, v40, s9
	ds_bpermute_b32 v81, v2, v32
	s_wait_dscnt 0x6
	v_dual_add_f32 v31, v31, v84 :: v_dual_add_f32 v26, v26, v82
	s_wait_dscnt 0x5
	v_add_f32_e32 v22, v22, v85
	ds_bpermute_b32 v82, v2, v39
	ds_bpermute_b32 v83, v2, v38
	;; [unrolled: 1-line block ×4, first 2 shown]
	s_wait_dscnt 0x7
	v_add_f32_e32 v30, v30, v79
	ds_bpermute_b32 v40, v2, v41
	ds_bpermute_b32 v79, v2, v42
	v_cndmask_b32_e64 v34, -v34, v34, s9
	v_cndmask_b32_e64 v43, -v43, v43, s9
	v_add_f32_e32 v28, v28, v78
	ds_bpermute_b32 v78, v2, v49
	s_wait_dscnt 0x9
	v_add_f32_e32 v35, v16, v35
	v_cndmask_b32_e64 v16, -v41, v41, s9
	v_cndmask_b32_e64 v41, -v49, v49, s9
	ds_bpermute_b32 v49, v2, v37
	v_cndmask_b32_e64 v36, -v36, v36, s9
	v_cndmask_b32_e64 v32, -v32, v32, s9
	;; [unrolled: 1-line block ×6, first 2 shown]
	s_wait_dscnt 0x7
	v_dual_add_f32 v36, v36, v80 :: v_dual_add_f32 v39, v39, v82
	v_add_f32_e32 v32, v32, v81
	s_wait_dscnt 0x6
	v_add_f32_e32 v38, v38, v83
	v_xor_b32_e32 v82, 4, v3
	ds_bpermute_b32 v80, v2, v46
	ds_bpermute_b32 v81, v2, v47
	v_cndmask_b32_e64 v47, -v47, v47, s9
	s_wait_dscnt 0x3
	v_dual_add_f32 v40, v16, v40 :: v_dual_add_f32 v41, v41, v78
	ds_bpermute_b32 v78, v2, v52
	v_cmp_gt_i32_e64 s0, 32, v82
	s_wait_dscnt 0x3
	v_dual_add_f32 v34, v34, v84 :: v_dual_add_f32 v37, v37, v49
	v_cndmask_b32_e64 v49, -v52, v52, s9
	v_add_f32_e32 v42, v42, v79
	ds_bpermute_b32 v79, v2, v51
	s_wait_alu 0xf1ff
	v_cndmask_b32_e64 v16, v3, v82, s0
	v_cndmask_b32_e64 v51, -v51, v51, s9
	v_add_f32_e32 v43, v43, v85
	v_cndmask_b32_e64 v46, -v46, v46, s9
	ds_bpermute_b32 v83, v2, v44
	v_lshlrev_b32_e32 v16, 2, v16
	ds_bpermute_b32 v82, v2, v48
	v_cndmask_b32_e64 v44, -v44, v44, s9
	v_cndmask_b32_e64 v48, -v48, v48, s9
	s_wait_dscnt 0x4
	v_add_f32_e32 v47, v47, v81
	s_wait_dscnt 0x3
	v_add_f32_e32 v49, v49, v78
	;; [unrolled: 2-line block ×3, first 2 shown]
	ds_bpermute_b32 v85, v16, v45
	v_and_b32_e32 v84, 4, v0
	ds_bpermute_b32 v86, v16, v50
	ds_bpermute_b32 v52, v16, v54
	;; [unrolled: 1-line block ×4, first 2 shown]
	v_cmp_eq_u32_e64 s0, 0, v84
	ds_bpermute_b32 v84, v16, v57
	ds_bpermute_b32 v79, v16, v60
	s_wait_alu 0xf1ff
	v_cndmask_b32_e64 v56, -v56, v56, s0
	v_add_f32_e32 v46, v46, v80
	ds_bpermute_b32 v80, v16, v55
	v_cndmask_b32_e64 v45, -v45, v45, s0
	v_cndmask_b32_e64 v50, -v50, v50, s0
	;; [unrolled: 1-line block ×5, first 2 shown]
	s_wait_dscnt 0x7
	v_add_f32_e32 v45, v45, v85
	ds_bpermute_b32 v85, v16, v61
	s_wait_dscnt 0x6
	v_add_f32_e32 v52, v54, v52
	s_wait_dscnt 0x1
	v_dual_add_f32 v54, v55, v80 :: v_dual_add_f32 v55, v56, v81
	ds_bpermute_b32 v80, v16, v4
	ds_bpermute_b32 v81, v16, v7
	v_cndmask_b32_e64 v7, -v7, v7, s0
	v_add_f32_e32 v56, v57, v84
	v_cndmask_b32_e64 v57, -v59, v59, s0
	v_add_f32_e32 v44, v44, v83
	ds_bpermute_b32 v83, v16, v53
	v_cndmask_b32_e64 v53, -v53, v53, s0
	v_add_f32_e32 v48, v48, v82
	ds_bpermute_b32 v82, v16, v58
	;; [unrolled: 3-line block ×3, first 2 shown]
	v_cndmask_b32_e64 v60, -v61, v61, s0
	ds_bpermute_b32 v61, v16, v63
	v_add_f32_e32 v57, v57, v78
	v_add_f32_e32 v59, v59, v79
	ds_bpermute_b32 v78, v16, v72
	ds_bpermute_b32 v79, v16, v8
	v_cndmask_b32_e64 v58, -v58, v58, s0
	v_cndmask_b32_e64 v6, -v6, v6, s0
	;; [unrolled: 1-line block ×4, first 2 shown]
	ds_bpermute_b32 v84, v16, v62
	s_wait_dscnt 0x7
	v_add_f32_e32 v7, v7, v81
	ds_bpermute_b32 v81, v16, v10
	s_wait_dscnt 0x7
	v_add_f32_e32 v53, v53, v83
	ds_bpermute_b32 v83, v16, v11
	v_cndmask_b32_e64 v11, -v11, v11, s0
	s_wait_dscnt 0x7
	v_add_f32_e32 v58, v58, v82
	ds_bpermute_b32 v82, v16, v13
	v_cndmask_b32_e64 v8, -v8, v8, s0
	v_cndmask_b32_e64 v62, -v62, v62, s0
	;; [unrolled: 1-line block ×3, first 2 shown]
	s_wait_dscnt 0x6
	v_add_f32_e32 v61, v63, v61
	v_cndmask_b32_e64 v63, -v72, v72, s0
	v_add_f32_e32 v60, v60, v85
	ds_bpermute_b32 v85, v16, v5
	v_cndmask_b32_e64 v5, -v5, v5, s0
	v_add_f32_e32 v6, v6, v86
	ds_bpermute_b32 v86, v16, v15
	;; [unrolled: 3-line block ×3, first 2 shown]
	ds_bpermute_b32 v80, v16, v9
	s_wait_dscnt 0x9
	v_add_f32_e32 v63, v63, v78
	v_cndmask_b32_e64 v9, -v9, v9, s0
	s_wait_dscnt 0x8
	v_add_f32_e32 v8, v8, v79
	ds_bpermute_b32 v78, v16, v74
	ds_bpermute_b32 v79, v16, v12
	v_cndmask_b32_e64 v73, -v73, v73, s0
	v_cndmask_b32_e64 v10, -v10, v10, s0
	s_wait_dscnt 0x7
	v_add_f32_e32 v11, v11, v83
	ds_bpermute_b32 v83, v16, v17
	s_wait_dscnt 0x7
	v_add_f32_e32 v13, v13, v82
	v_cndmask_b32_e64 v17, -v17, v17, s0
	v_add_f32_e32 v62, v62, v84
	ds_bpermute_b32 v84, v16, v14
	s_wait_dscnt 0x7
	v_add_f32_e32 v5, v5, v85
	ds_bpermute_b32 v82, v16, v20
	s_wait_dscnt 0x7
	v_add_f32_e32 v15, v15, v86
	ds_bpermute_b32 v85, v16, v19
	ds_bpermute_b32 v86, v16, v76
	v_cndmask_b32_e64 v19, -v19, v19, s0
	s_wait_dscnt 0x8
	v_add_f32_e32 v72, v73, v72
	s_wait_dscnt 0x7
	v_add_f32_e32 v9, v9, v80
	v_cndmask_b32_e64 v73, -v74, v74, s0
	v_add_f32_e32 v10, v10, v81
	v_cndmask_b32_e64 v74, -v76, v76, s0
	ds_bpermute_b32 v76, v16, v75
	ds_bpermute_b32 v80, v16, v18
	;; [unrolled: 1-line block ×3, first 2 shown]
	v_cndmask_b32_e64 v12, -v12, v12, s0
	s_wait_dscnt 0x9
	v_add_f32_e32 v73, v73, v78
	v_cndmask_b32_e64 v75, -v75, v75, s0
	ds_bpermute_b32 v78, v16, v24
	v_cndmask_b32_e64 v14, -v14, v14, s0
	s_wait_dscnt 0x9
	v_add_f32_e32 v12, v12, v79
	ds_bpermute_b32 v79, v16, v25
	v_cndmask_b32_e64 v20, -v20, v20, s0
	v_cndmask_b32_e64 v18, -v18, v18, s0
	;; [unrolled: 1-line block ×3, first 2 shown]
	s_wait_dscnt 0x9
	v_add_f32_e32 v17, v17, v83
	ds_bpermute_b32 v83, v16, v23
	v_cndmask_b32_e64 v23, -v23, v23, s0
	s_wait_dscnt 0x9
	v_add_f32_e32 v14, v14, v84
	ds_bpermute_b32 v84, v16, v21
	v_cndmask_b32_e64 v21, -v21, v21, s0
	s_wait_dscnt 0x9
	v_add_f32_e32 v20, v20, v82
	ds_bpermute_b32 v82, v16, v29
	s_wait_dscnt 0x7
	v_add_f32_e32 v75, v75, v76
	v_cndmask_b32_e64 v25, -v25, v25, s0
	v_add_f32_e32 v74, v74, v86
	ds_bpermute_b32 v86, v16, v27
	v_cndmask_b32_e64 v29, -v29, v29, s0
	s_wait_dscnt 0x7
	v_add_f32_e32 v18, v18, v80
	ds_bpermute_b32 v80, v16, v22
	v_cndmask_b32_e64 v27, -v27, v27, s0
	s_wait_dscnt 0x7
	v_add_f32_e32 v76, v77, v81
	ds_bpermute_b32 v81, v16, v33
	v_cndmask_b32_e64 v24, -v24, v24, s0
	ds_bpermute_b32 v77, v16, v31
	s_wait_dscnt 0x7
	v_add_f32_e32 v25, v25, v79
	v_cndmask_b32_e64 v31, -v31, v31, s0
	ds_bpermute_b32 v79, v16, v36
	v_add_f32_e32 v24, v24, v78
	ds_bpermute_b32 v78, v16, v30
	v_cndmask_b32_e64 v22, -v22, v22, s0
	v_cndmask_b32_e64 v33, -v33, v33, s0
	v_add_f32_e32 v19, v19, v85
	ds_bpermute_b32 v85, v16, v26
	s_wait_dscnt 0x9
	v_add_f32_e32 v23, v23, v83
	ds_bpermute_b32 v83, v16, v28
	v_cndmask_b32_e64 v30, -v30, v30, s0
	v_cndmask_b32_e64 v36, -v36, v36, s0
	s_wait_dscnt 0x9
	v_add_f32_e32 v21, v21, v84
	s_wait_dscnt 0x6
	v_dual_add_f32 v22, v22, v80 :: v_dual_add_f32 v29, v29, v82
	v_add_f32_e32 v27, v27, v86
	s_wait_dscnt 0x5
	v_add_f32_e32 v33, v33, v81
	ds_bpermute_b32 v81, v16, v43
	ds_bpermute_b32 v82, v16, v32
	;; [unrolled: 1-line block ×4, first 2 shown]
	v_cndmask_b32_e64 v43, -v43, v43, s0
	v_cndmask_b32_e64 v41, -v41, v41, s0
	s_wait_dscnt 0x6
	v_add_f32_e32 v30, v30, v78
	v_add_f32_e32 v36, v36, v79
	ds_bpermute_b32 v78, v16, v42
	ds_bpermute_b32 v79, v16, v37
	v_cndmask_b32_e64 v26, -v26, v26, s0
	v_cndmask_b32_e64 v28, -v28, v28, s0
	ds_bpermute_b32 v80, v16, v34
	v_cndmask_b32_e64 v35, -v35, v35, s0
	v_cndmask_b32_e64 v32, -v32, v32, s0
	s_wait_dscnt 0x8
	v_add_f32_e32 v26, v26, v85
	ds_bpermute_b32 v85, v16, v39
	v_cndmask_b32_e64 v39, -v39, v39, s0
	s_wait_dscnt 0x8
	v_add_f32_e32 v28, v28, v83
	ds_bpermute_b32 v83, v16, v40
	s_wait_dscnt 0x8
	v_add_f32_e32 v43, v43, v81
	v_xor_b32_e32 v81, 8, v3
	v_cndmask_b32_e64 v42, -v42, v42, s0
	v_cndmask_b32_e64 v37, -v37, v37, s0
	s_wait_dscnt 0x6
	v_dual_add_f32 v32, v32, v82 :: v_dual_add_f32 v35, v35, v84
	v_cmp_gt_i32_e64 s10, 32, v81
	v_and_b32_e32 v84, 8, v0
	v_cndmask_b32_e64 v34, -v34, v34, s0
	s_wait_dscnt 0x3
	v_add_f32_e32 v37, v37, v79
	ds_bpermute_b32 v79, v16, v51
	v_cndmask_b32_e64 v51, -v51, v51, s0
	v_add_f32_e32 v42, v42, v78
	v_cndmask_b32_e64 v78, v3, v81, s10
	v_cndmask_b32_e64 v40, -v40, v40, s0
	v_cmp_eq_u32_e64 s10, 0, v84
	v_add_f32_e32 v31, v31, v77
	ds_bpermute_b32 v77, v16, v38
	s_wait_dscnt 0x3
	v_dual_add_f32 v39, v39, v85 :: v_dual_lshlrev_b32 v78, 2, v78
	v_cndmask_b32_e64 v38, -v38, v38, s0
	ds_bpermute_b32 v82, v16, v44
	v_add_f32_e32 v41, v41, v86
	ds_bpermute_b32 v85, v78, v45
	s_wait_alu 0xf1ff
	v_cndmask_b32_e64 v45, -v45, v45, s10
	s_wait_dscnt 0x4
	v_add_f32_e32 v40, v40, v83
	ds_bpermute_b32 v83, v16, v49
	v_cndmask_b32_e64 v49, -v49, v49, s0
	v_add_f32_e32 v34, v34, v80
	ds_bpermute_b32 v80, v16, v47
	v_cndmask_b32_e64 v47, -v47, v47, s0
	v_cndmask_b32_e64 v44, -v44, v44, s0
	s_wait_dscnt 0x5
	v_add_f32_e32 v51, v51, v79
	ds_bpermute_b32 v81, v16, v48
	v_cndmask_b32_e64 v48, -v48, v48, s0
	s_wait_dscnt 0x5
	v_add_f32_e32 v38, v38, v77
	ds_bpermute_b32 v77, v16, v46
	v_cndmask_b32_e64 v46, -v46, v46, s0
	s_wait_dscnt 0x4
	v_add_f32_e32 v45, v45, v85
	s_wait_dscnt 0x3
	v_add_f32_e32 v49, v49, v83
	;; [unrolled: 2-line block ×3, first 2 shown]
	ds_bpermute_b32 v80, v78, v55
	v_cndmask_b32_e64 v55, -v55, v55, s10
	s_wait_dscnt 0x0
	s_delay_alu instid0(VALU_DEP_1)
	v_add_f32_e32 v55, v55, v80
	ds_bpermute_b32 v86, v78, v50
	ds_bpermute_b32 v87, v78, v52
	;; [unrolled: 1-line block ×3, first 2 shown]
	v_cndmask_b32_e64 v59, -v59, v59, s10
	v_add_f32_e32 v44, v44, v82
	ds_bpermute_b32 v82, v78, v53
	v_cndmask_b32_e64 v50, -v50, v50, s10
	v_cndmask_b32_e64 v52, -v52, v52, s10
	;; [unrolled: 1-line block ×3, first 2 shown]
	ds_bpermute_b32 v83, v78, v56
	ds_bpermute_b32 v84, v78, v57
	v_cndmask_b32_e64 v57, -v57, v57, s10
	v_add_f32_e32 v46, v46, v77
	ds_bpermute_b32 v77, v78, v54
	ds_bpermute_b32 v85, v78, v60
	v_cndmask_b32_e64 v54, -v54, v54, s10
	v_cndmask_b32_e64 v56, -v56, v56, s10
	;; [unrolled: 1-line block ×3, first 2 shown]
	ds_bpermute_b32 v80, v78, v7
	s_wait_dscnt 0x7
	v_add_f32_e32 v52, v52, v87
	ds_bpermute_b32 v87, v78, v61
	v_cndmask_b32_e64 v61, -v61, v61, s10
	v_add_f32_e32 v50, v50, v86
	ds_bpermute_b32 v86, v78, v6
	s_wait_dscnt 0x7
	v_add_f32_e32 v53, v53, v82
	ds_bpermute_b32 v82, v78, v11
	v_cndmask_b32_e64 v6, -v6, v6, s10
	v_dual_add_f32 v48, v48, v81 :: v_dual_add_f32 v59, v59, v79
	ds_bpermute_b32 v81, v78, v58
	s_wait_dscnt 0x7
	v_add_f32_e32 v57, v57, v84
	ds_bpermute_b32 v84, v78, v63
	v_cndmask_b32_e64 v58, -v58, v58, s10
	s_wait_dscnt 0x4
	v_add_f32_e32 v61, v61, v87
	ds_bpermute_b32 v87, v78, v72
	s_wait_dscnt 0x4
	v_add_f32_e32 v79, v6, v86
	v_cndmask_b32_e64 v6, -v7, v7, s10
	v_cndmask_b32_e64 v7, -v11, v11, s10
	v_cndmask_b32_e64 v11, -v62, v62, s10
	ds_bpermute_b32 v86, v78, v15
	v_add_f32_e32 v80, v6, v80
	s_wait_dscnt 0x4
	v_add_f32_e32 v82, v7, v82
	v_cndmask_b32_e64 v7, -v15, v15, s10
	ds_bpermute_b32 v15, v78, v17
	v_add_f32_e32 v60, v60, v85
	ds_bpermute_b32 v85, v78, v5
	v_cndmask_b32_e64 v5, -v5, v5, s10
	v_add_f32_e32 v56, v56, v83
	ds_bpermute_b32 v83, v78, v62
	v_add_f32_e32 v54, v54, v77
	ds_bpermute_b32 v77, v78, v4
	v_cndmask_b32_e64 v4, -v4, v4, s10
	v_cndmask_b32_e64 v62, -v63, v63, s10
	ds_bpermute_b32 v63, v78, v8
	v_cndmask_b32_e64 v6, -v13, v13, s10
	s_wait_dscnt 0x3
	v_add_f32_e32 v85, v5, v85
	v_cndmask_b32_e64 v5, -v10, v10, s10
	s_wait_dscnt 0x2
	v_add_f32_e32 v83, v11, v83
	ds_bpermute_b32 v11, v78, v9
	s_wait_dscnt 0x2
	v_add_f32_e32 v77, v4, v77
	v_cndmask_b32_e64 v4, -v8, v8, s10
	v_add_f32_e32 v58, v58, v81
	ds_bpermute_b32 v81, v78, v13
	ds_bpermute_b32 v13, v78, v10
	v_add_f32_e32 v62, v62, v84
	ds_bpermute_b32 v84, v78, v73
	v_cndmask_b32_e64 v8, -v72, v72, s10
	ds_bpermute_b32 v72, v78, v14
	ds_bpermute_b32 v10, v78, v20
	s_wait_dscnt 0x6
	v_add_f32_e32 v63, v4, v63
	v_cndmask_b32_e64 v4, -v9, v9, s10
	v_add_f32_e32 v87, v8, v87
	v_cndmask_b32_e64 v8, -v73, v73, s10
	ds_bpermute_b32 v73, v78, v75
	ds_bpermute_b32 v9, v78, v12
	s_wait_dscnt 0x6
	v_add_f32_e32 v81, v6, v81
	v_cndmask_b32_e64 v6, -v17, v17, s10
	ds_bpermute_b32 v17, v78, v74
	s_wait_dscnt 0x5
	v_add_f32_e32 v84, v8, v84
	v_cndmask_b32_e64 v8, -v75, v75, s10
	v_add_f32_e32 v86, v7, v86
	v_cndmask_b32_e64 v7, -v14, v14, s10
	ds_bpermute_b32 v14, v78, v19
	v_add_f32_e32 v89, v5, v13
	v_add_f32_e32 v15, v6, v15
	v_cndmask_b32_e64 v5, -v20, v20, s10
	v_add_f32_e32 v88, v4, v11
	v_cndmask_b32_e64 v4, -v12, v12, s10
	v_cndmask_b32_e64 v6, -v19, v19, s10
	ds_bpermute_b32 v12, v78, v76
	ds_bpermute_b32 v13, v78, v23
	;; [unrolled: 1-line block ×4, first 2 shown]
	s_wait_dscnt 0x8
	v_add_f32_e32 v75, v5, v10
	s_wait_dscnt 0x7
	v_add_f32_e32 v73, v8, v73
	v_cndmask_b32_e64 v8, -v24, v24, s10
	ds_bpermute_b32 v10, v78, v29
	ds_bpermute_b32 v11, v78, v18
	v_cndmask_b32_e64 v5, -v76, v76, s10
	s_wait_dscnt 0x6
	v_add_f32_e32 v90, v6, v14
	v_cndmask_b32_e64 v6, -v23, v23, s10
	v_add_f32_e32 v72, v7, v72
	v_cndmask_b32_e64 v7, -v74, v74, s10
	ds_bpermute_b32 v14, v78, v26
	s_wait_dscnt 0x6
	v_dual_add_f32 v92, v5, v12 :: v_dual_add_f32 v91, v7, v17
	ds_bpermute_b32 v17, v78, v27
	v_cndmask_b32_e64 v7, -v21, v21, s10
	v_cndmask_b32_e64 v5, -v29, v29, s10
	v_add_f32_e32 v74, v4, v9
	v_cndmask_b32_e64 v4, -v18, v18, s10
	ds_bpermute_b32 v9, v78, v25
	ds_bpermute_b32 v18, v78, v31
	s_wait_dscnt 0x8
	v_add_f32_e32 v93, v6, v13
	s_wait_dscnt 0x6
	v_add_f32_e32 v95, v8, v20
	v_cndmask_b32_e64 v6, -v26, v26, s10
	v_cndmask_b32_e64 v8, -v31, v31, s10
	ds_bpermute_b32 v12, v78, v33
	ds_bpermute_b32 v13, v78, v28
	s_wait_dscnt 0x7
	v_add_f32_e32 v31, v5, v10
	v_cndmask_b32_e64 v5, -v33, v33, s10
	v_add_f32_e32 v94, v7, v19
	v_cndmask_b32_e64 v7, -v27, v27, s10
	s_wait_dscnt 0x6
	v_add_f32_e32 v76, v4, v11
	ds_bpermute_b32 v11, v78, v22
	ds_bpermute_b32 v19, v78, v30
	v_cndmask_b32_e64 v4, -v25, v25, s10
	s_wait_dscnt 0x6
	v_add_f32_e32 v97, v7, v17
	v_cndmask_b32_e64 v7, -v30, v30, s10
	v_add_f32_e32 v96, v6, v14
	ds_bpermute_b32 v14, v78, v38
	v_cndmask_b32_e64 v6, -v28, v28, s10
	s_wait_dscnt 0x6
	v_add_f32_e32 v29, v4, v9
	v_cndmask_b32_e64 v4, -v22, v22, s10
	ds_bpermute_b32 v9, v78, v35
	ds_bpermute_b32 v10, v78, v39
	;; [unrolled: 1-line block ×3, first 2 shown]
	s_wait_dscnt 0x6
	v_dual_add_f32 v99, v5, v12 :: v_dual_add_f32 v100, v6, v13
	v_cndmask_b32_e64 v6, -v35, v35, s10
	v_add_f32_e32 v98, v8, v18
	ds_bpermute_b32 v8, v78, v32
	v_cndmask_b32_e64 v13, -v38, v38, s10
	ds_bpermute_b32 v5, v78, v43
	s_wait_dscnt 0x7
	v_add_f32_e32 v30, v4, v11
	ds_bpermute_b32 v11, v78, v41
	v_cndmask_b32_e64 v4, -v32, v32, s10
	v_cndmask_b32_e64 v12, -v39, v39, s10
	ds_bpermute_b32 v17, v78, v34
	v_cndmask_b32_e64 v18, -v36, v36, s10
	s_wait_dscnt 0x7
	v_add_f32_e32 v105, v13, v14
	v_xor_b32_e32 v13, 16, v3
	v_add_f32_e32 v101, v7, v19
	ds_bpermute_b32 v7, v78, v40
	s_wait_dscnt 0x7
	v_add_f32_e32 v103, v6, v9
	ds_bpermute_b32 v9, v78, v37
	v_cmp_gt_i32_e64 s11, 32, v13
	v_cndmask_b32_e64 v19, -v34, v34, s10
	v_cndmask_b32_e64 v6, -v40, v40, s10
	s_wait_alu 0xf1ff
	s_delay_alu instid0(VALU_DEP_3)
	v_cndmask_b32_e64 v3, v3, v13, s11
	s_wait_dscnt 0x5
	v_add_f32_e32 v32, v4, v8
	v_cndmask_b32_e64 v8, -v41, v41, s10
	v_cndmask_b32_e64 v4, -v43, v43, s10
	v_dual_add_f32 v102, v18, v20 :: v_dual_lshlrev_b32 v111, 2, v3
	ds_bpermute_b32 v3, v78, v44
	v_add_f32_e32 v104, v12, v10
	ds_bpermute_b32 v10, v78, v46
	ds_bpermute_b32 v18, v78, v42
	s_wait_dscnt 0x6
	v_add_f32_e32 v109, v8, v11
	ds_bpermute_b32 v11, v78, v48
	ds_bpermute_b32 v12, v78, v47
	v_add_f32_e32 v107, v4, v5
	v_cndmask_b32_e64 v5, -v46, v46, s10
	s_wait_dscnt 0x7
	v_add_f32_e32 v106, v19, v17
	v_cndmask_b32_e64 v4, -v42, v42, s10
	ds_bpermute_b32 v8, v78, v51
	ds_bpermute_b32 v13, v111, v45
	;; [unrolled: 1-line block ×11, first 2 shown]
	s_wait_dscnt 0xe
	v_add_f32_e32 v113, v5, v10
	v_cndmask_b32_e64 v10, -v48, v48, s10
	v_cndmask_b32_e64 v5, -v44, v44, s10
	ds_bpermute_b32 v34, v111, v85
	ds_bpermute_b32 v28, v111, v63
	;; [unrolled: 1-line block ×3, first 2 shown]
	s_wait_dscnt 0xf
	v_add_f32_e32 v118, v10, v11
	ds_bpermute_b32 v11, v111, v59
	v_add_f32_e32 v110, v4, v18
	v_cndmask_b32_e64 v4, -v37, v37, s10
	ds_bpermute_b32 v18, v111, v55
	v_add_f32_e32 v115, v5, v3
	ds_bpermute_b32 v10, v111, v57
	ds_bpermute_b32 v38, v111, v89
	v_add_f32_e32 v112, v4, v9
	v_and_b32_e32 v4, 16, v0
	v_cndmask_b32_e64 v9, -v51, v51, s10
	v_add_f32_e32 v108, v6, v7
	v_cndmask_b32_e64 v6, -v47, v47, s10
	ds_bpermute_b32 v7, v78, v49
	ds_bpermute_b32 v39, v111, v15
	s_wait_dscnt 0x13
	v_add_f32_e32 v117, v9, v8
	ds_bpermute_b32 v9, v111, v56
	v_add_f32_e32 v114, v6, v12
	v_cndmask_b32_e64 v6, -v49, v49, s10
	v_cmp_eq_u32_e64 s10, 0, v4
	ds_bpermute_b32 v12, v111, v50
	ds_bpermute_b32 v26, v111, v83
	;; [unrolled: 1-line block ×4, first 2 shown]
	s_wait_alu 0xf1ff
	v_cndmask_b32_e64 v4, -v45, v45, s10
	v_cndmask_b32_e64 v5, -v52, v52, s10
	;; [unrolled: 1-line block ×3, first 2 shown]
	ds_bpermute_b32 v27, v111, v62
	ds_bpermute_b32 v37, v111, v88
	s_wait_dscnt 0x19
	v_add_f32_e32 v3, v4, v13
	ds_bpermute_b32 v13, v111, v58
	v_cndmask_b32_e64 v4, -v50, v50, s10
	s_wait_dscnt 0x18
	v_add_f32_e32 v5, v5, v14
	v_cndmask_b32_e64 v14, -v57, v57, s10
	ds_bpermute_b32 v43, v111, v75
	ds_bpermute_b32 v49, v111, v93
	v_cndmask_b32_e64 v15, -v15, v15, s10
	ds_bpermute_b32 v40, v111, v72
	ds_bpermute_b32 v35, v111, v86
	;; [unrolled: 1-line block ×3, first 2 shown]
	s_wait_dscnt 0xb
	v_add_f32_e32 v4, v4, v12
	v_cndmask_b32_e64 v12, -v56, v56, s10
	v_add_f32_e32 v116, v6, v7
	v_cndmask_b32_e64 v7, -v55, v55, s10
	v_cndmask_b32_e64 v6, -v54, v54, s10
	ds_bpermute_b32 v42, v111, v74
	v_add_f32_e32 v9, v12, v9
	ds_bpermute_b32 v52, v111, v29
	v_add_f32_e32 v7, v7, v18
	v_cndmask_b32_e64 v18, -v58, v58, s10
	ds_bpermute_b32 v54, v111, v96
	v_cndmask_b32_e64 v29, -v29, v29, s10
	ds_bpermute_b32 v45, v111, v91
	ds_bpermute_b32 v47, v111, v76
	s_wait_dscnt 0xa
	v_add_f32_e32 v12, v18, v13
	v_cndmask_b32_e64 v18, -v77, v77, s10
	ds_bpermute_b32 v48, v111, v92
	ds_bpermute_b32 v53, v111, v31
	;; [unrolled: 1-line block ×4, first 2 shown]
	v_add_f32_e32 v18, v18, v23
	v_cndmask_b32_e64 v23, -v63, v63, s10
	v_add_f32_e32 v10, v14, v10
	v_cndmask_b32_e64 v14, -v79, v79, s10
	ds_bpermute_b32 v58, v111, v99
	ds_bpermute_b32 v55, v111, v97
	v_add_f32_e32 v23, v23, v28
	v_cndmask_b32_e64 v28, -v88, v88, s10
	v_add_f32_e32 v14, v14, v21
	v_cndmask_b32_e64 v21, -v83, v83, s10
	;; [unrolled: 2-line block ×3, first 2 shown]
	ds_bpermute_b32 v60, v111, v101
	ds_bpermute_b32 v46, v111, v73
	v_add_f32_e32 v21, v21, v26
	v_cndmask_b32_e64 v26, -v86, v86, s10
	v_add_f32_e32 v13, v19, v20
	v_cndmask_b32_e64 v19, -v80, v80, s10
	v_cndmask_b32_e64 v20, -v82, v82, s10
	v_add_f32_e32 v6, v6, v17
	v_cndmask_b32_e64 v17, -v59, v59, s10
	ds_bpermute_b32 v59, v111, v100
	v_dual_add_f32 v19, v19, v24 :: v_dual_add_f32 v20, v20, v25
	v_cndmask_b32_e64 v24, -v81, v81, s10
	v_cndmask_b32_e64 v25, -v85, v85, s10
	v_add_f32_e32 v11, v17, v11
	v_cndmask_b32_e64 v17, -v61, v61, s10
	v_cndmask_b32_e64 v31, -v31, v31, s10
	ds_bpermute_b32 v56, v111, v98
	v_dual_add_f32 v25, v25, v34 :: v_dual_add_f32 v34, v15, v39
	v_cndmask_b32_e64 v39, -v90, v90, s10
	v_add_f32_e32 v24, v24, v33
	v_cndmask_b32_e64 v33, -v89, v89, s10
	v_add_f32_e32 v17, v17, v22
	v_cndmask_b32_e64 v22, -v62, v62, s10
	v_add_f32_e32 v39, v39, v44
	v_cndmask_b32_e64 v44, -v93, v93, s10
	v_add_f32_e32 v33, v33, v38
	v_cndmask_b32_e64 v38, -v75, v75, s10
	v_cndmask_b32_e64 v15, -v72, v72, s10
	ds_bpermute_b32 v62, v111, v32
	s_wait_dscnt 0x13
	v_add_f32_e32 v44, v44, v49
	v_cndmask_b32_e64 v49, -v96, v96, s10
	v_add_f32_e32 v38, v38, v43
	v_cndmask_b32_e64 v43, -v92, v92, s10
	v_add_f32_e32 v28, v28, v37
	v_cndmask_b32_e64 v37, -v74, v74, s10
	v_add_f32_e32 v22, v22, v27
	v_cndmask_b32_e64 v27, -v87, v87, s10
	s_wait_dscnt 0xd
	v_add_f32_e32 v49, v49, v54
	v_cndmask_b32_e64 v54, -v100, v100, s10
	v_add_f32_e32 v37, v37, v42
	v_cndmask_b32_e64 v42, -v76, v76, s10
	;; [unrolled: 2-line block ×3, first 2 shown]
	s_wait_dscnt 0xa
	v_add_f32_e32 v43, v43, v48
	v_cndmask_b32_e64 v30, -v30, v30, s10
	s_wait_dscnt 0x2
	v_add_f32_e32 v54, v54, v59
	ds_bpermute_b32 v59, v111, v107
	v_add_f32_e32 v36, v36, v41
	v_cndmask_b32_e64 v41, -v73, v73, s10
	v_dual_add_f32 v26, v26, v35 :: v_dual_add_f32 v35, v15, v40
	v_cndmask_b32_e64 v15, -v91, v91, s10
	v_add_f32_e32 v48, v31, v53
	v_cndmask_b32_e64 v31, -v99, v99, s10
	v_dual_add_f32 v42, v42, v47 :: v_dual_add_f32 v47, v29, v52
	v_cndmask_b32_e64 v29, -v98, v98, s10
	v_add_f32_e32 v40, v15, v45
	v_cndmask_b32_e64 v15, -v94, v94, s10
	ds_bpermute_b32 v63, v111, v103
	v_add_f32_e32 v53, v31, v58
	v_cndmask_b32_e64 v31, -v103, v103, s10
	v_dual_add_f32 v52, v30, v57 :: v_dual_add_f32 v45, v15, v50
	v_cndmask_b32_e64 v15, -v97, v97, s10
	v_cndmask_b32_e64 v30, -v32, v32, s10
	ds_bpermute_b32 v57, v111, v105
	ds_bpermute_b32 v79, v111, v109
	;; [unrolled: 1-line block ×4, first 2 shown]
	s_wait_dscnt 0x6
	v_add_f32_e32 v72, v30, v62
	v_cndmask_b32_e64 v30, -v105, v105, s10
	v_add_f32_e32 v50, v15, v55
	v_cndmask_b32_e64 v15, -v101, v101, s10
	ds_bpermute_b32 v58, v111, v106
	ds_bpermute_b32 v78, v111, v108
	;; [unrolled: 1-line block ×4, first 2 shown]
	v_add_f32_e32 v55, v15, v60
	ds_bpermute_b32 v15, v111, v110
	v_add_f32_e32 v41, v41, v46
	v_cndmask_b32_e64 v46, -v95, v95, s10
	v_cndmask_b32_e64 v32, -v104, v104, s10
	s_wait_dscnt 0x9
	v_add_f32_e32 v73, v31, v63
	v_cndmask_b32_e64 v31, -v106, v106, s10
	v_cndmask_b32_e64 v60, -v108, v108, s10
	s_wait_dscnt 0x8
	v_add_f32_e32 v75, v30, v57
	v_cndmask_b32_e64 v30, -v110, v110, s10
	ds_bpermute_b32 v63, v111, v114
	s_wait_dscnt 0x6
	v_add_f32_e32 v74, v32, v74
	v_cndmask_b32_e64 v32, -v107, v107, s10
	ds_bpermute_b32 v62, v111, v113
	ds_bpermute_b32 v57, v111, v117
	s_wait_dscnt 0x7
	v_add_f32_e32 v76, v31, v58
	s_wait_dscnt 0x6
	v_add_f32_e32 v78, v60, v78
	v_cndmask_b32_e64 v31, -v112, v112, s10
	v_dual_add_f32 v46, v46, v51 :: v_dual_add_f32 v51, v29, v56
	v_cndmask_b32_e64 v29, -v102, v102, s10
	ds_bpermute_b32 v58, v111, v118
	v_cndmask_b32_e64 v60, -v118, v118, s10
	s_wait_dscnt 0x4
	v_add_f32_e32 v80, v30, v15
	v_cndmask_b32_e64 v30, -v115, v115, s10
	v_add_f32_e32 v77, v32, v59
	ds_bpermute_b32 v32, v111, v116
	v_cndmask_b32_e64 v15, -v113, v113, s10
	v_lshrrev_b32_e32 v59, 3, v0
	v_add_f32_e32 v84, v30, v84
	v_cndmask_b32_e64 v30, -v116, v116, s10
	v_add_f32_e32 v56, v29, v61
	ds_bpermute_b32 v29, v111, v112
	s_wait_dscnt 0x4
	v_add_f32_e32 v82, v15, v62
	v_lshrrev_b32_e32 v15, 5, v0
	v_cndmask_b32_e64 v61, -v109, v109, s10
	s_delay_alu instid0(VALU_DEP_1)
	v_add_f32_e32 v79, v61, v79
	s_wait_dscnt 0x2
	v_add_f32_e32 v87, v60, v58
	s_wait_dscnt 0x1
	v_add_f32_e32 v85, v30, v32
	s_wait_dscnt 0x0
	v_add_f32_e32 v81, v31, v29
	v_cndmask_b32_e64 v29, -v114, v114, s10
	v_and_b32_e32 v31, 7, v0
	v_xor_b32_e32 v0, v15, v0
	s_delay_alu instid0(VALU_DEP_3) | instskip(NEXT) | instid1(VALU_DEP_3)
	v_add_f32_e32 v83, v29, v63
	v_lshl_or_b32 v29, v31, 5, v59
	s_delay_alu instid0(VALU_DEP_3)
	v_lshl_add_u32 v60, v0, 4, 0
	ds_store_b128 v60, v[3:6]
	ds_store_b128 v60, v[7:10] offset:4096
	ds_store_b128 v60, v[11:14] offset:8192
	;; [unrolled: 1-line block ×7, first 2 shown]
	v_xor_b32_e32 v15, v29, v31
	s_wait_loadcnt_dscnt 0x0
	s_barrier_signal -1
	s_barrier_wait -1
	global_inv scope:SCOPE_SE
	v_lshl_add_u32 v32, v15, 4, 0
	ds_load_b128 v[3:6], v32
	ds_load_b128 v[7:10], v32 offset:4096
	ds_load_b128 v[11:14], v32 offset:8192
	;; [unrolled: 1-line block ×7, first 2 shown]
	v_cndmask_b32_e64 v59, -v117, v117, s10
	s_wait_loadcnt_dscnt 0x0
	s_barrier_signal -1
	s_barrier_wait -1
	global_inv scope:SCOPE_SE
	v_add_f32_e32 v86, v59, v57
	ds_bpermute_b32 v30, v1, v6
	ds_bpermute_b32 v63, v1, v9
	v_cndmask_b32_e64 v59, -v6, v6, s1
	v_cndmask_b32_e64 v9, -v9, v9, s1
	ds_bpermute_b32 v0, v1, v3
	ds_bpermute_b32 v15, v1, v4
	;; [unrolled: 1-line block ×4, first 2 shown]
	v_cndmask_b32_e64 v31, -v3, v3, s1
	v_cndmask_b32_e64 v57, -v4, v4, s1
	;; [unrolled: 1-line block ×4, first 2 shown]
	ds_bpermute_b32 v62, v1, v8
	v_cndmask_b32_e64 v8, -v8, v8, s1
	s_wait_dscnt 0x5
	v_add_f32_e32 v9, v9, v63
	ds_bpermute_b32 v63, v1, v21
	v_cndmask_b32_e64 v21, -v21, v21, s1
	v_add_f32_e32 v30, v59, v30
	ds_bpermute_b32 v59, v1, v17
	v_cndmask_b32_e64 v17, -v17, v17, s1
	s_wait_dscnt 0x5
	v_add_f32_e32 v15, v57, v15
	s_wait_dscnt 0x4
	v_add_f32_e32 v29, v58, v29
	ds_bpermute_b32 v57, v1, v13
	s_wait_dscnt 0x4
	v_add_f32_e32 v7, v7, v61
	v_cndmask_b32_e64 v13, -v13, v13, s1
	v_add_f32_e32 v0, v31, v0
	ds_bpermute_b32 v31, v1, v12
	v_cndmask_b32_e64 v12, -v12, v12, s1
	ds_bpermute_b32 v58, v1, v14
	ds_bpermute_b32 v61, v1, v19
	v_cndmask_b32_e64 v19, -v19, v19, s1
	v_cndmask_b32_e64 v14, -v14, v14, s1
	s_wait_dscnt 0x5
	v_add_f32_e32 v21, v21, v63
	ds_bpermute_b32 v63, v1, v35
	s_wait_dscnt 0x5
	v_add_f32_e32 v17, v17, v59
	ds_store_b128 v60, v[41:44]
	ds_store_b128 v60, v[45:48] offset:4096
	ds_store_b128 v60, v[49:52] offset:8192
	;; [unrolled: 1-line block ×7, first 2 shown]
	ds_bpermute_b32 v84, v1, v10
	ds_bpermute_b32 v85, v1, v11
	v_cndmask_b32_e64 v10, -v10, v10, s1
	v_cndmask_b32_e64 v11, -v11, v11, s1
	ds_bpermute_b32 v86, v1, v18
	v_add_f32_e32 v8, v8, v62
	ds_bpermute_b32 v62, v1, v20
	v_cndmask_b32_e64 v18, -v18, v18, s1
	v_cndmask_b32_e64 v20, -v20, v20, s1
	s_wait_dscnt 0x10
	v_add_f32_e32 v13, v13, v57
	ds_bpermute_b32 v57, v1, v25
	ds_bpermute_b32 v59, v1, v27
	s_wait_dscnt 0xf
	v_add_f32_e32 v19, v19, v61
	v_cndmask_b32_e64 v25, -v25, v25, s1
	v_add_f32_e32 v14, v14, v58
	ds_bpermute_b32 v58, v1, v26
	v_cndmask_b32_e64 v27, -v27, v27, s1
	ds_bpermute_b32 v61, v1, v33
	s_wait_loadcnt_dscnt 0x0
	s_barrier_signal -1
	v_dual_add_f32 v10, v10, v84 :: v_dual_add_f32 v11, v11, v85
	ds_bpermute_b32 v84, v1, v22
	ds_bpermute_b32 v85, v1, v23
	v_cndmask_b32_e64 v23, -v23, v23, s1
	v_add_f32_e32 v12, v12, v31
	ds_bpermute_b32 v31, v1, v24
	v_cndmask_b32_e64 v22, -v22, v22, s1
	v_cndmask_b32_e64 v24, -v24, v24, s1
	v_add_f32_e32 v18, v18, v86
	ds_bpermute_b32 v86, v1, v28
	s_barrier_wait -1
	s_wait_dscnt 0x0
	global_inv scope:SCOPE_SE
	ds_load_b128 v[41:44], v32
	ds_load_b128 v[45:48], v32 offset:4096
	ds_load_b128 v[49:52], v32 offset:8192
	;; [unrolled: 1-line block ×5, first 2 shown]
	v_cndmask_b32_e64 v26, -v26, v26, s1
	v_cndmask_b32_e64 v28, -v28, v28, s1
	v_add_f32_e32 v25, v25, v57
	v_add_f32_e32 v27, v27, v59
	ds_bpermute_b32 v57, v1, v39
	v_cndmask_b32_e64 v39, -v39, v39, s1
	ds_load_b128 v[3:6], v32 offset:24576
	ds_load_b128 v[80:83], v32 offset:28672
	s_wait_loadcnt_dscnt 0x0
	s_barrier_signal -1
	v_add_f32_e32 v23, v23, v85
	ds_bpermute_b32 v85, v1, v37
	s_barrier_wait -1
	v_add_f32_e32 v24, v24, v31
	v_cndmask_b32_e64 v31, -v33, v33, s1
	v_add_f32_e32 v20, v20, v62
	ds_bpermute_b32 v62, v1, v34
	v_cndmask_b32_e64 v33, -v34, v34, s1
	v_add_f32_e32 v22, v22, v84
	ds_bpermute_b32 v84, v1, v36
	v_cndmask_b32_e64 v34, -v35, v35, s1
	v_cndmask_b32_e64 v35, -v36, v36, s1
	;; [unrolled: 1-line block ×3, first 2 shown]
	ds_bpermute_b32 v37, v1, v38
	ds_bpermute_b32 v59, v1, v41
	v_cndmask_b32_e64 v38, -v38, v38, s1
	v_add_f32_e32 v28, v28, v86
	ds_bpermute_b32 v86, v1, v42
	v_add_f32_e32 v31, v31, v61
	ds_bpermute_b32 v61, v1, v43
	v_cndmask_b32_e64 v41, -v41, v41, s1
	v_cndmask_b32_e64 v42, -v42, v42, s1
	s_wait_dscnt 0x6
	v_add_f32_e32 v36, v36, v85
	ds_bpermute_b32 v85, v1, v47
	s_wait_dscnt 0x0
	global_inv scope:SCOPE_SE
	v_add_f32_e32 v33, v33, v62
	ds_bpermute_b32 v62, v1, v44
	v_add_f32_e32 v35, v35, v84
	ds_bpermute_b32 v84, v1, v46
	v_add_f32_e32 v26, v26, v58
	ds_bpermute_b32 v58, v1, v40
	v_cndmask_b32_e64 v40, -v40, v40, s1
	v_add_f32_e32 v34, v34, v63
	ds_bpermute_b32 v63, v1, v45
	v_add_f32_e32 v37, v38, v37
	v_add_f32_e32 v38, v39, v57
	ds_bpermute_b32 v57, v1, v49
	v_cndmask_b32_e64 v49, -v49, v49, s1
	s_wait_dscnt 0x2
	v_dual_add_f32 v39, v40, v58 :: v_dual_add_f32 v40, v41, v59
	v_add_f32_e32 v41, v42, v86
	v_cndmask_b32_e64 v42, -v43, v43, s1
	v_cndmask_b32_e64 v43, -v44, v44, s1
	;; [unrolled: 1-line block ×5, first 2 shown]
	ds_bpermute_b32 v47, v1, v48
	ds_bpermute_b32 v58, v1, v50
	;; [unrolled: 1-line block ×4, first 2 shown]
	v_add_f32_e32 v43, v43, v62
	v_cndmask_b32_e64 v50, -v50, v50, s1
	s_wait_dscnt 0x5
	v_add_f32_e32 v44, v44, v63
	v_cndmask_b32_e64 v52, -v52, v52, s1
	v_add_f32_e32 v42, v42, v61
	ds_bpermute_b32 v61, v1, v53
	ds_bpermute_b32 v62, v1, v54
	;; [unrolled: 1-line block ×3, first 2 shown]
	v_cndmask_b32_e64 v48, -v48, v48, s1
	v_cndmask_b32_e64 v51, -v51, v51, s1
	v_add_f32_e32 v45, v45, v84
	ds_bpermute_b32 v84, v1, v56
	s_wait_dscnt 0x7
	v_dual_add_f32 v47, v48, v47 :: v_dual_add_f32 v48, v49, v57
	s_wait_dscnt 0x6
	v_add_f32_e32 v49, v50, v58
	ds_bpermute_b32 v57, v1, v73
	s_wait_dscnt 0x5
	v_dual_add_f32 v50, v51, v59 :: v_dual_add_f32 v51, v52, v86
	v_cndmask_b32_e64 v52, -v53, v53, s1
	v_cndmask_b32_e64 v53, -v54, v54, s1
	v_add_f32_e32 v46, v46, v85
	ds_bpermute_b32 v85, v1, v72
	v_cndmask_b32_e64 v54, -v55, v55, s1
	v_cndmask_b32_e64 v55, -v56, v56, s1
	;; [unrolled: 1-line block ×3, first 2 shown]
	ds_bpermute_b32 v58, v1, v74
	ds_bpermute_b32 v59, v1, v75
	;; [unrolled: 1-line block ×4, first 2 shown]
	s_wait_dscnt 0x7
	v_dual_add_f32 v53, v53, v62 :: v_dual_add_f32 v54, v54, v63
	v_cndmask_b32_e64 v62, -v74, v74, s1
	v_cndmask_b32_e64 v63, -v75, v75, s1
	v_add_f32_e32 v52, v52, v61
	v_cndmask_b32_e64 v61, -v73, v73, s1
	v_cndmask_b32_e64 v73, -v76, v76, s1
	;; [unrolled: 1-line block ×3, first 2 shown]
	ds_bpermute_b32 v75, v1, v78
	ds_bpermute_b32 v76, v1, v79
	;; [unrolled: 1-line block ×3, first 2 shown]
	s_wait_dscnt 0x9
	v_add_f32_e32 v55, v55, v84
	ds_bpermute_b32 v84, v1, v4
	s_wait_dscnt 0x9
	v_add_f32_e32 v57, v61, v57
	v_cndmask_b32_e64 v3, -v3, v3, s1
	v_cndmask_b32_e64 v4, -v4, v4, s1
	s_wait_dscnt 0x6
	v_dual_add_f32 v58, v62, v58 :: v_dual_add_f32 v59, v63, v59
	s_wait_dscnt 0x5
	v_add_f32_e32 v61, v73, v72
	v_cndmask_b32_e64 v63, -v78, v78, s1
	v_add_f32_e32 v56, v56, v85
	ds_bpermute_b32 v85, v1, v5
	v_cndmask_b32_e64 v72, -v79, v79, s1
	v_cndmask_b32_e64 v5, -v5, v5, s1
	s_wait_dscnt 0x5
	v_add_f32_e32 v62, v74, v86
	ds_bpermute_b32 v73, v1, v6
	ds_bpermute_b32 v74, v1, v80
	;; [unrolled: 1-line block ×5, first 2 shown]
	s_wait_dscnt 0x9
	v_add_f32_e32 v63, v63, v75
	s_wait_dscnt 0x7
	v_add_f32_e32 v3, v3, v77
	v_cndmask_b32_e64 v75, -v80, v80, s1
	v_add_f32_e32 v72, v72, v76
	v_cndmask_b32_e64 v76, -v81, v81, s1
	v_cndmask_b32_e64 v77, -v82, v82, s1
	;; [unrolled: 1-line block ×3, first 2 shown]
	ds_bpermute_b32 v81, v2, v0
	ds_bpermute_b32 v82, v2, v15
	;; [unrolled: 1-line block ×3, first 2 shown]
	v_cndmask_b32_e64 v6, -v6, v6, s1
	s_wait_dscnt 0x8
	v_dual_add_f32 v4, v4, v84 :: v_dual_add_f32 v5, v5, v85
	ds_bpermute_b32 v84, v2, v30
	ds_bpermute_b32 v85, v2, v7
	v_cndmask_b32_e64 v0, -v0, v0, s9
	v_cndmask_b32_e64 v15, -v15, v15, s9
	s_wait_dscnt 0x8
	v_dual_add_f32 v6, v6, v73 :: v_dual_add_f32 v73, v75, v74
	s_wait_dscnt 0x6
	v_add_f32_e32 v75, v77, v79
	v_cndmask_b32_e64 v29, -v29, v29, s9
	v_add_f32_e32 v74, v76, v78
	v_cndmask_b32_e64 v30, -v30, v30, s9
	s_wait_dscnt 0x5
	v_add_f32_e32 v1, v80, v1
	ds_bpermute_b32 v76, v2, v8
	ds_bpermute_b32 v77, v2, v9
	;; [unrolled: 1-line block ×5, first 2 shown]
	s_wait_dscnt 0x8
	v_add_f32_e32 v15, v15, v82
	s_wait_dscnt 0x7
	v_add_f32_e32 v29, v29, v83
	v_cndmask_b32_e64 v11, -v11, v11, s9
	v_add_f32_e32 v0, v0, v81
	ds_bpermute_b32 v81, v2, v13
	ds_bpermute_b32 v82, v2, v14
	;; [unrolled: 1-line block ×3, first 2 shown]
	v_cndmask_b32_e64 v7, -v7, v7, s9
	v_cndmask_b32_e64 v8, -v8, v8, s9
	v_cndmask_b32_e64 v9, -v9, v9, s9
	v_cndmask_b32_e64 v10, -v10, v10, s9
	v_cndmask_b32_e64 v12, -v12, v12, s9
	s_wait_dscnt 0x8
	v_dual_add_f32 v30, v30, v84 :: v_dual_add_f32 v7, v7, v85
	ds_bpermute_b32 v84, v2, v18
	ds_bpermute_b32 v85, v2, v19
	s_wait_dscnt 0x8
	v_dual_add_f32 v8, v8, v76 :: v_dual_add_f32 v9, v9, v77
	s_wait_dscnt 0x6
	v_dual_add_f32 v10, v10, v78 :: v_dual_add_f32 v11, v11, v79
	v_cndmask_b32_e64 v13, -v13, v13, s9
	s_wait_dscnt 0x5
	v_add_f32_e32 v12, v12, v80
	v_cndmask_b32_e64 v14, -v14, v14, s9
	v_cndmask_b32_e64 v17, -v17, v17, s9
	ds_bpermute_b32 v76, v2, v20
	ds_bpermute_b32 v77, v2, v21
	ds_bpermute_b32 v78, v2, v22
	ds_bpermute_b32 v79, v2, v23
	ds_bpermute_b32 v80, v2, v24
	s_wait_dscnt 0x8
	v_dual_add_f32 v13, v13, v81 :: v_dual_add_f32 v14, v14, v82
	s_wait_dscnt 0x7
	v_add_f32_e32 v17, v17, v83
	ds_bpermute_b32 v81, v2, v25
	ds_bpermute_b32 v82, v2, v26
	ds_bpermute_b32 v83, v2, v27
	v_cndmask_b32_e64 v18, -v18, v18, s9
	v_cndmask_b32_e64 v19, -v19, v19, s9
	v_cndmask_b32_e64 v20, -v20, v20, s9
	v_cndmask_b32_e64 v21, -v21, v21, s9
	v_cndmask_b32_e64 v22, -v22, v22, s9
	v_cndmask_b32_e64 v23, -v23, v23, s9
	v_cndmask_b32_e64 v24, -v24, v24, s9
	s_wait_dscnt 0x8
	v_dual_add_f32 v18, v18, v84 :: v_dual_add_f32 v19, v19, v85
	ds_bpermute_b32 v84, v2, v28
	ds_bpermute_b32 v85, v2, v31
	s_wait_dscnt 0x8
	v_dual_add_f32 v20, v20, v76 :: v_dual_add_f32 v21, v21, v77
	s_wait_dscnt 0x6
	v_dual_add_f32 v22, v22, v78 :: v_dual_add_f32 v23, v23, v79
	v_cndmask_b32_e64 v25, -v25, v25, s9
	s_wait_dscnt 0x5
	v_add_f32_e32 v24, v24, v80
	v_cndmask_b32_e64 v26, -v26, v26, s9
	v_cndmask_b32_e64 v27, -v27, v27, s9
	ds_bpermute_b32 v76, v2, v33
	ds_bpermute_b32 v77, v2, v34
	ds_bpermute_b32 v78, v2, v35
	ds_bpermute_b32 v79, v2, v36
	ds_bpermute_b32 v80, v2, v37
	s_wait_dscnt 0x8
	v_dual_add_f32 v25, v25, v81 :: v_dual_add_f32 v26, v26, v82
	s_wait_dscnt 0x7
	v_add_f32_e32 v27, v27, v83
	ds_bpermute_b32 v81, v2, v38
	ds_bpermute_b32 v82, v2, v39
	ds_bpermute_b32 v83, v2, v40
	v_cndmask_b32_e64 v28, -v28, v28, s9
	v_cndmask_b32_e64 v31, -v31, v31, s9
	;; [unrolled: 32-line block ×4, first 2 shown]
	v_cndmask_b32_e64 v53, -v53, v53, s9
	v_cndmask_b32_e64 v54, -v54, v54, s9
	;; [unrolled: 1-line block ×5, first 2 shown]
	s_wait_dscnt 0x8
	v_dual_add_f32 v51, v51, v84 :: v_dual_add_f32 v52, v52, v85
	ds_bpermute_b32 v85, v2, v63
	s_wait_dscnt 0x7
	v_dual_add_f32 v53, v53, v76 :: v_dual_add_f32 v54, v54, v77
	s_wait_dscnt 0x5
	v_dual_add_f32 v55, v55, v78 :: v_dual_add_f32 v56, v56, v79
	v_cndmask_b32_e64 v58, -v58, v58, s9
	s_wait_dscnt 0x4
	v_add_f32_e32 v57, v57, v80
	v_cndmask_b32_e64 v59, -v59, v59, s9
	v_cndmask_b32_e64 v61, -v61, v61, s9
	ds_bpermute_b32 v76, v2, v72
	ds_bpermute_b32 v77, v2, v3
	;; [unrolled: 1-line block ×6, first 2 shown]
	v_cndmask_b32_e64 v62, -v62, v62, s9
	s_wait_dscnt 0x8
	v_dual_add_f32 v58, v58, v81 :: v_dual_add_f32 v59, v59, v82
	v_cndmask_b32_e64 v72, -v72, v72, s9
	s_wait_dscnt 0x7
	v_add_f32_e32 v61, v61, v83
	ds_bpermute_b32 v81, v2, v73
	ds_bpermute_b32 v82, v2, v74
	;; [unrolled: 1-line block ×4, first 2 shown]
	v_cndmask_b32_e64 v63, -v63, v63, s9
	v_cndmask_b32_e64 v3, -v3, v3, s9
	;; [unrolled: 1-line block ×5, first 2 shown]
	s_wait_dscnt 0x9
	v_dual_add_f32 v63, v63, v85 :: v_dual_add_f32 v72, v72, v76
	s_wait_dscnt 0x7
	v_dual_add_f32 v85, v3, v77 :: v_dual_add_f32 v78, v4, v78
	s_wait_dscnt 0x5
	v_add_f32_e32 v80, v6, v80
	v_cndmask_b32_e64 v3, -v73, v73, s9
	v_cndmask_b32_e64 v4, -v74, v74, s9
	v_add_f32_e32 v79, v5, v79
	v_cndmask_b32_e64 v5, -v75, v75, s9
	v_cndmask_b32_e64 v1, -v1, v1, s9
	ds_bpermute_b32 v6, v16, v15
	ds_bpermute_b32 v73, v16, v29
	;; [unrolled: 1-line block ×5, first 2 shown]
	s_wait_dscnt 0x9
	v_add_f32_e32 v62, v62, v84
	ds_bpermute_b32 v84, v16, v0
	v_cndmask_b32_e64 v0, -v0, v0, s0
	s_wait_dscnt 0x6
	v_dual_add_f32 v81, v3, v81 :: v_dual_add_f32 v86, v1, v2
	v_dual_add_f32 v82, v4, v82 :: v_dual_add_f32 v83, v5, v83
	v_cndmask_b32_e64 v1, -v15, v15, s0
	v_cndmask_b32_e64 v2, -v29, v29, s0
	;; [unrolled: 1-line block ×5, first 2 shown]
	ds_bpermute_b32 v7, v16, v9
	ds_bpermute_b32 v8, v16, v10
	;; [unrolled: 1-line block ×5, first 2 shown]
	s_wait_dscnt 0x9
	v_dual_add_f32 v1, v1, v6 :: v_dual_add_f32 v2, v2, v73
	s_wait_dscnt 0x7
	v_dual_add_f32 v3, v3, v74 :: v_dual_add_f32 v4, v4, v75
	v_cndmask_b32_e64 v6, -v9, v9, s0
	s_wait_dscnt 0x6
	v_add_f32_e32 v5, v5, v76
	v_cndmask_b32_e64 v9, -v10, v10, s0
	v_cndmask_b32_e64 v10, -v11, v11, s0
	;; [unrolled: 1-line block ×4, first 2 shown]
	ds_bpermute_b32 v13, v16, v14
	ds_bpermute_b32 v73, v16, v17
	;; [unrolled: 1-line block ×5, first 2 shown]
	s_wait_dscnt 0x8
	v_dual_add_f32 v6, v6, v7 :: v_dual_add_f32 v7, v9, v8
	s_wait_dscnt 0x6
	v_dual_add_f32 v8, v10, v15 :: v_dual_add_f32 v9, v11, v29
	s_wait_dscnt 0x5
	v_add_f32_e32 v10, v12, v30
	v_cndmask_b32_e64 v11, -v14, v14, s0
	v_cndmask_b32_e64 v12, -v17, v17, s0
	;; [unrolled: 1-line block ×5, first 2 shown]
	ds_bpermute_b32 v18, v16, v21
	ds_bpermute_b32 v19, v16, v22
	ds_bpermute_b32 v20, v16, v23
	ds_bpermute_b32 v29, v16, v24
	ds_bpermute_b32 v30, v16, v25
	s_wait_dscnt 0x9
	v_add_f32_e32 v11, v11, v13
	s_wait_dscnt 0x7
	v_dual_add_f32 v12, v12, v73 :: v_dual_add_f32 v13, v14, v74
	s_wait_dscnt 0x5
	v_dual_add_f32 v14, v15, v75 :: v_dual_add_f32 v15, v17, v76
	v_cndmask_b32_e64 v17, -v21, v21, s0
	v_cndmask_b32_e64 v21, -v22, v22, s0
	;; [unrolled: 1-line block ×5, first 2 shown]
	ds_bpermute_b32 v25, v16, v26
	ds_bpermute_b32 v75, v16, v31
	;; [unrolled: 1-line block ×5, first 2 shown]
	s_wait_dscnt 0x9
	v_add_f32_e32 v17, v17, v18
	s_wait_dscnt 0x8
	v_add_f32_e32 v18, v21, v19
	ds_bpermute_b32 v77, v16, v38
	v_add_f32_e32 v0, v0, v84
	s_wait_dscnt 0x6
	v_add_f32_e32 v21, v24, v30
	v_cndmask_b32_e64 v24, -v28, v28, s0
	v_dual_add_f32 v19, v22, v20 :: v_dual_add_f32 v20, v23, v29
	ds_bpermute_b32 v28, v16, v34
	ds_bpermute_b32 v29, v16, v35
	;; [unrolled: 1-line block ×3, first 2 shown]
	v_cndmask_b32_e64 v22, -v26, v26, s0
	v_cndmask_b32_e64 v23, -v27, v27, s0
	;; [unrolled: 1-line block ×4, first 2 shown]
	ds_bpermute_b32 v31, v16, v37
	s_wait_dscnt 0x9
	v_add_f32_e32 v22, v22, v25
	v_cndmask_b32_e64 v33, -v35, v35, s0
	s_wait_dscnt 0x7
	v_dual_add_f32 v25, v26, v75 :: v_dual_add_f32 v26, v27, v76
	v_cndmask_b32_e64 v27, -v34, v34, s0
	v_cndmask_b32_e64 v34, -v36, v36, s0
	;; [unrolled: 1-line block ×4, first 2 shown]
	ds_bpermute_b32 v37, v16, v39
	ds_bpermute_b32 v38, v16, v40
	s_wait_dscnt 0x7
	v_add_f32_e32 v24, v24, v74
	ds_bpermute_b32 v74, v16, v42
	ds_bpermute_b32 v75, v16, v43
	s_wait_dscnt 0x6
	v_dual_add_f32 v27, v27, v28 :: v_dual_add_f32 v28, v33, v29
	s_wait_dscnt 0x5
	v_add_f32_e32 v33, v34, v30
	v_cndmask_b32_e64 v29, -v39, v39, s0
	v_cndmask_b32_e64 v30, -v40, v40, s0
	;; [unrolled: 1-line block ×4, first 2 shown]
	v_add_f32_e32 v23, v23, v73
	ds_bpermute_b32 v73, v16, v41
	ds_bpermute_b32 v42, v16, v45
	s_wait_dscnt 0x6
	v_dual_add_f32 v34, v35, v31 :: v_dual_add_f32 v35, v36, v77
	v_cndmask_b32_e64 v31, -v41, v41, s0
	ds_bpermute_b32 v41, v16, v44
	ds_bpermute_b32 v43, v16, v46
	;; [unrolled: 1-line block ×3, first 2 shown]
	s_wait_dscnt 0x7
	v_dual_add_f32 v36, v29, v37 :: v_dual_add_f32 v37, v30, v38
	v_cndmask_b32_e64 v30, -v45, v45, s0
	ds_bpermute_b32 v77, v16, v48
	v_cndmask_b32_e64 v29, -v44, v44, s0
	v_cndmask_b32_e64 v44, -v47, v47, s0
	;; [unrolled: 1-line block ×3, first 2 shown]
	ds_bpermute_b32 v47, v16, v50
	ds_bpermute_b32 v48, v16, v51
	s_wait_dscnt 0x8
	v_dual_add_f32 v39, v39, v74 :: v_dual_add_f32 v40, v40, v75
	ds_bpermute_b32 v74, v16, v53
	ds_bpermute_b32 v75, v16, v57
	s_wait_dscnt 0x8
	v_add_f32_e32 v42, v30, v42
	v_cndmask_b32_e64 v30, -v50, v50, s0
	v_add_f32_e32 v38, v31, v73
	v_cndmask_b32_e64 v31, -v46, v46, s0
	ds_bpermute_b32 v46, v16, v49
	ds_bpermute_b32 v73, v16, v52
	s_wait_dscnt 0x7
	v_add_f32_e32 v44, v44, v76
	v_cndmask_b32_e64 v50, -v53, v53, s0
	v_add_f32_e32 v43, v31, v43
	v_cndmask_b32_e64 v31, -v51, v51, s0
	;; [unrolled: 2-line block ×3, first 2 shown]
	v_cndmask_b32_e64 v49, -v52, v52, s0
	ds_bpermute_b32 v51, v16, v54
	ds_bpermute_b32 v52, v16, v55
	;; [unrolled: 1-line block ×4, first 2 shown]
	s_wait_dscnt 0x8
	v_add_f32_e32 v48, v31, v48
	ds_bpermute_b32 v31, v16, v62
	s_wait_dscnt 0x8
	v_dual_add_f32 v45, v45, v77 :: v_dual_add_f32 v50, v50, v74
	v_add_f32_e32 v47, v30, v47
	ds_bpermute_b32 v30, v16, v61
	ds_bpermute_b32 v77, v16, v72
	s_wait_dscnt 0x8
	v_add_f32_e32 v46, v29, v46
	ds_bpermute_b32 v29, v16, v59
	v_cndmask_b32_e64 v54, -v54, v54, s0
	v_cndmask_b32_e64 v55, -v55, v55, s0
	s_wait_dscnt 0x8
	v_add_f32_e32 v49, v49, v73
	ds_bpermute_b32 v73, v16, v63
	v_cndmask_b32_e64 v56, -v56, v56, s0
	v_cndmask_b32_e64 v57, -v57, v57, s0
	;; [unrolled: 1-line block ×3, first 2 shown]
	ds_store_b128 v32, v[0:3]
	ds_store_b128 v32, v[4:7] offset:4096
	ds_store_b128 v32, v[8:11] offset:8192
	;; [unrolled: 1-line block ×7, first 2 shown]
	s_wait_dscnt 0xe
	v_dual_add_f32 v52, v55, v52 :: v_dual_add_f32 v53, v56, v53
	v_cndmask_b32_e64 v56, -v59, v59, s0
	v_add_f32_e32 v51, v54, v51
	v_add_f32_e32 v54, v57, v75
	v_cndmask_b32_e64 v57, -v61, v61, s0
	s_wait_dscnt 0xd
	v_add_f32_e32 v55, v58, v76
	v_cndmask_b32_e64 v58, -v62, v62, s0
	v_cndmask_b32_e64 v59, -v63, v63, s0
	;; [unrolled: 1-line block ×3, first 2 shown]
	s_wait_dscnt 0xb
	v_add_f32_e32 v74, v57, v30
	s_wait_dscnt 0x9
	v_dual_add_f32 v56, v56, v29 :: v_dual_add_f32 v75, v58, v31
	ds_bpermute_b32 v29, v16, v85
	ds_bpermute_b32 v31, v16, v78
	;; [unrolled: 1-line block ×4, first 2 shown]
	v_add_f32_e32 v77, v61, v77
	ds_bpermute_b32 v61, v16, v82
	s_wait_loadcnt_dscnt 0x0
	s_barrier_signal -1
	s_barrier_wait -1
	global_inv scope:SCOPE_SE
	ds_load_b128 v[0:3], v60
	ds_load_b128 v[4:7], v60 offset:8192
	ds_load_b128 v[8:11], v60 offset:16384
	;; [unrolled: 1-line block ×3, first 2 shown]
	v_add_f32_e32 v76, v59, v73
	ds_bpermute_b32 v59, v16, v81
	ds_bpermute_b32 v62, v16, v83
	;; [unrolled: 1-line block ×3, first 2 shown]
	v_cndmask_b32_e64 v30, -v85, v85, s0
	v_cndmask_b32_e64 v17, -v78, v78, s0
	;; [unrolled: 1-line block ×5, first 2 shown]
	s_delay_alu instid0(VALU_DEP_4) | instskip(SKIP_3) | instid1(VALU_DEP_3)
	v_dual_add_f32 v33, v30, v29 :: v_dual_add_f32 v34, v17, v31
	v_cndmask_b32_e64 v17, -v79, v79, s0
	v_cndmask_b32_e64 v72, -v83, v83, s0
	v_dual_add_f32 v89, v19, v61 :: v_dual_add_f32 v36, v16, v58
	v_add_f32_e32 v35, v17, v57
	v_cndmask_b32_e64 v57, -v86, v86, s0
	s_wait_dscnt 0x5
	v_dual_add_f32 v80, v0, v4 :: v_dual_add_f32 v81, v1, v5
	s_wait_dscnt 0x3
	v_add_f32_e32 v82, v8, v12
	s_wait_dscnt 0x2
	v_add_f32_e32 v88, v18, v59
	ds_load_b128 v[16:19], v60 offset:4096
	ds_load_b128 v[20:23], v60 offset:12288
	;; [unrolled: 1-line block ×4, first 2 shown]
	s_wait_dscnt 0x5
	v_dual_add_f32 v83, v9, v13 :: v_dual_add_f32 v90, v72, v62
	s_wait_dscnt 0x4
	v_dual_add_f32 v91, v57, v63 :: v_dual_add_f32 v72, v80, v82
	s_wait_loadcnt_dscnt 0x0
	s_barrier_signal -1
	s_barrier_wait -1
	global_inv scope:SCOPE_SE
	ds_store_b128 v32, v[37:40]
	ds_store_b128 v32, v[41:44] offset:4096
	ds_store_b128 v32, v[45:48] offset:8192
	;; [unrolled: 1-line block ×7, first 2 shown]
	s_wait_loadcnt_dscnt 0x0
	s_barrier_signal -1
	s_barrier_wait -1
	global_inv scope:SCOPE_SE
	ds_load_b128 v[32:35], v60
	ds_load_b128 v[40:43], v60 offset:8192
	ds_load_b128 v[36:39], v60 offset:4096
	;; [unrolled: 1-line block ×7, first 2 shown]
	v_dual_add_f32 v73, v81, v83 :: v_dual_add_f32 v84, v2, v6
	v_dual_add_f32 v85, v3, v7 :: v_dual_add_f32 v86, v10, v14
	;; [unrolled: 1-line block ×4, first 2 shown]
	s_delay_alu instid0(VALU_DEP_3)
	v_dual_add_f32 v99, v25, v29 :: v_dual_add_f32 v74, v84, v86
	v_dual_add_f32 v100, v18, v22 :: v_dual_add_f32 v101, v19, v23
	;; [unrolled: 1-line block ×3, first 2 shown]
	v_add_f32_e32 v75, v85, v87
	s_mul_u64 s[0:1], s[18:19], s[20:21]
	s_wait_dscnt 0x6
	v_dual_add_f32 v104, v32, v40 :: v_dual_add_f32 v105, v33, v41
	v_dual_add_f32 v106, v34, v42 :: v_dual_add_f32 v107, v35, v43
	s_wait_dscnt 0x4
	v_dual_add_f32 v108, v36, v44 :: v_dual_add_f32 v109, v37, v45
	v_dual_add_f32 v110, v38, v46 :: v_dual_add_f32 v111, v39, v47
	;; [unrolled: 3-line block ×4, first 2 shown]
	v_add_f32_e32 v92, v104, v112
	v_dual_add_f32 v77, v96, v98 :: v_dual_add_f32 v76, v97, v99
	v_dual_add_f32 v79, v100, v102 :: v_dual_add_f32 v78, v101, v103
	;; [unrolled: 1-line block ×5, first 2 shown]
	v_add_f32_e32 v91, v111, v119
	s_wait_alu 0xfffe
	s_lshl_b64 s[0:1], s[0:1], 1
	s_wait_alu 0xfffe
	s_add_nc_u64 s[0:1], s[14:15], s[0:1]
	s_and_saveexec_b32 s9, s5
	s_cbranch_execz .LBB24_18
; %bb.17:
	v_dual_add_f32 v120, v95, v79 :: v_dual_add_f32 v121, v90, v77
	v_dual_add_f32 v126, v88, v75 :: v_dual_add_f32 v127, v94, v74
	;; [unrolled: 1-line block ×4, first 2 shown]
	s_wait_kmcnt 0x0
	v_fma_mixlo_f16 v123, s12, v120, 0
	v_fma_mixlo_f16 v122, s12, v121, 0
	;; [unrolled: 1-line block ×4, first 2 shown]
	s_delay_alu instid0(VALU_DEP_4) | instskip(NEXT) | instid1(VALU_DEP_4)
	v_fma_mixhi_f16 v123, s12, v124, 0
	v_fma_mixhi_f16 v122, s12, v125, 0
	s_delay_alu instid0(VALU_DEP_4) | instskip(NEXT) | instid1(VALU_DEP_4)
	v_fma_mixhi_f16 v121, s12, v126, 0
	v_fma_mixhi_f16 v120, s12, v129, 0
	global_store_b128 v69, v[120:123], s[0:1]
.LBB24_18:
	s_wait_alu 0xfffe
	s_or_b32 exec_lo, exec_lo, s9
	v_dual_sub_f32 v69, v1, v5 :: v_dual_sub_f32 v120, v0, v4
	v_dual_sub_f32 v121, v8, v12 :: v_dual_sub_f32 v122, v9, v13
	v_sub_f32_e32 v123, v2, v6
	v_dual_sub_f32 v124, v10, v14 :: v_dual_sub_f32 v125, v3, v7
	v_dual_sub_f32 v128, v16, v20 :: v_dual_sub_f32 v129, v25, v29
	;; [unrolled: 1-line block ×3, first 2 shown]
	v_dual_add_f32 v0, v120, v121 :: v_dual_add_f32 v1, v69, v122
	v_sub_f32_e32 v126, v11, v15
	v_dual_add_f32 v2, v123, v124 :: v_dual_sub_f32 v127, v17, v21
	v_dual_sub_f32 v132, v18, v22 :: v_dual_sub_f32 v41, v33, v41
	v_dual_sub_f32 v133, v26, v30 :: v_dual_sub_f32 v134, v27, v31
	v_add_f32_e32 v5, v128, v130
	v_dual_sub_f32 v40, v32, v40 :: v_dual_sub_f32 v43, v35, v43
	v_dual_sub_f32 v42, v34, v42 :: v_dual_sub_f32 v135, v37, v45
	;; [unrolled: 1-line block ×7, first 2 shown]
	v_sub_f32_e32 v52, v54, v62
	v_dual_add_f32 v3, v125, v126 :: v_dual_add_f32 v4, v127, v129
	v_dual_add_f32 v7, v132, v133 :: v_dual_add_f32 v6, v131, v134
	;; [unrolled: 1-line block ×6, first 2 shown]
	s_and_saveexec_b32 s5, vcc_lo
	s_cbranch_execz .LBB24_20
; %bb.19:
	v_dual_add_f32 v16, v12, v0 :: v_dual_add_f32 v17, v14, v2
	s_delay_alu instid0(VALU_DEP_2)
	v_dual_add_f32 v18, v15, v7 :: v_dual_add_f32 v21, v10, v5
	v_add_f32_e32 v20, v13, v1
	v_dual_add_f32 v22, v8, v3 :: v_dual_add_f32 v23, v9, v4
	v_add_f32_e32 v24, v11, v6
	s_wait_kmcnt 0x0
	v_fma_mixlo_f16 v19, s12, v18, 0
	v_fma_mixlo_f16 v18, s12, v21, 0
	;; [unrolled: 1-line block ×4, first 2 shown]
	s_delay_alu instid0(VALU_DEP_4) | instskip(NEXT) | instid1(VALU_DEP_4)
	v_fma_mixhi_f16 v19, s12, v24, 0
	v_fma_mixhi_f16 v18, s12, v23, 0
	s_delay_alu instid0(VALU_DEP_4) | instskip(NEXT) | instid1(VALU_DEP_4)
	v_fma_mixhi_f16 v17, s12, v22, 0
	v_fma_mixhi_f16 v16, s12, v20, 0
	global_store_b128 v65, v[16:19], s[0:1]
.LBB24_20:
	s_or_b32 exec_lo, exec_lo, s5
	v_dual_sub_f32 v20, v80, v82 :: v_dual_sub_f32 v21, v81, v83
	v_dual_sub_f32 v22, v84, v86 :: v_dual_sub_f32 v17, v97, v99
	;; [unrolled: 1-line block ×8, first 2 shown]
	s_and_saveexec_b32 s5, s2
	s_cbranch_execz .LBB24_22
; %bb.21:
	v_dual_add_f32 v32, v20, v28 :: v_dual_add_f32 v33, v22, v30
	s_delay_alu instid0(VALU_DEP_2) | instskip(SKIP_4) | instid1(VALU_DEP_3)
	v_dual_add_f32 v36, v21, v29 :: v_dual_add_f32 v37, v18, v26
	v_dual_add_f32 v34, v23, v31 :: v_dual_add_f32 v39, v17, v25
	;; [unrolled: 1-line block ×3, first 2 shown]
	s_wait_kmcnt 0x0
	v_fma_mixlo_f16 v33, s12, v33, 0
	v_fma_mixlo_f16 v35, s12, v34, 0
	;; [unrolled: 1-line block ×4, first 2 shown]
	s_delay_alu instid0(VALU_DEP_4) | instskip(NEXT) | instid1(VALU_DEP_4)
	v_fma_mixhi_f16 v33, s12, v38, 0
	v_fma_mixhi_f16 v35, s12, v53, 0
	s_delay_alu instid0(VALU_DEP_4) | instskip(NEXT) | instid1(VALU_DEP_4)
	v_fma_mixhi_f16 v34, s12, v39, 0
	v_fma_mixhi_f16 v32, s12, v36, 0
	global_store_b128 v64, v[32:35], s[0:1]
.LBB24_22:
	s_or_b32 exec_lo, exec_lo, s5
	v_dual_sub_f32 v36, v69, v122 :: v_dual_sub_f32 v37, v120, v121
	v_dual_sub_f32 v38, v125, v126 :: v_dual_sub_f32 v33, v127, v129
	;; [unrolled: 1-line block ×5, first 2 shown]
	v_sub_f32_e32 v46, v43, v46
	v_dual_sub_f32 v40, v42, v48 :: v_dual_sub_f32 v41, v135, v49
	v_dual_sub_f32 v43, v136, v50 :: v_dual_sub_f32 v42, v47, v51
	v_sub_f32_e32 v47, v137, v52
	s_and_saveexec_b32 s2, s3
	s_cbranch_execnz .LBB24_28
; %bb.23:
	s_or_b32 exec_lo, exec_lo, s2
	s_and_saveexec_b32 s2, s4
	s_cbranch_execnz .LBB24_29
.LBB24_24:
	s_or_b32 exec_lo, exec_lo, s2
	s_and_saveexec_b32 s2, s6
	s_cbranch_execnz .LBB24_30
.LBB24_25:
	s_or_b32 exec_lo, exec_lo, s2
	s_and_saveexec_b32 s2, s7
	s_cbranch_execnz .LBB24_31
.LBB24_26:
	s_or_b32 exec_lo, exec_lo, s2
	s_and_saveexec_b32 s2, s8
	s_cbranch_execnz .LBB24_32
.LBB24_27:
	s_nop 0
	s_sendmsg sendmsg(MSG_DEALLOC_VGPRS)
	s_endpgm
.LBB24_28:
	v_dual_add_f32 v48, v37, v45 :: v_dual_add_f32 v49, v32, v40
	v_dual_add_f32 v52, v36, v44 :: v_dual_add_f32 v53, v35, v43
	;; [unrolled: 1-line block ×3, first 2 shown]
	v_add_f32_e32 v54, v38, v46
	v_add_f32_e32 v56, v34, v42
	s_wait_kmcnt 0x0
	v_fma_mixlo_f16 v49, s12, v49, 0
	v_fma_mixlo_f16 v51, s12, v50, 0
	;; [unrolled: 1-line block ×4, first 2 shown]
	s_delay_alu instid0(VALU_DEP_4) | instskip(NEXT) | instid1(VALU_DEP_4)
	v_fma_mixhi_f16 v49, s12, v54, 0
	v_fma_mixhi_f16 v51, s12, v56, 0
	s_delay_alu instid0(VALU_DEP_4) | instskip(NEXT) | instid1(VALU_DEP_4)
	v_fma_mixhi_f16 v50, s12, v55, 0
	v_fma_mixhi_f16 v48, s12, v52, 0
	global_store_b128 v66, v[48:51], s[0:1]
	s_or_b32 exec_lo, exec_lo, s2
	s_and_saveexec_b32 s2, s4
	s_cbranch_execz .LBB24_24
.LBB24_29:
	v_dual_sub_f32 v48, v72, v92 :: v_dual_sub_f32 v49, v74, v94
	v_dual_sub_f32 v50, v79, v95 :: v_dual_sub_f32 v53, v77, v90
	v_sub_f32_e32 v52, v73, v93
	v_dual_sub_f32 v54, v75, v88 :: v_dual_sub_f32 v55, v76, v89
	v_sub_f32_e32 v56, v78, v91
	s_wait_kmcnt 0x0
	v_fma_mixlo_f16 v51, s12, v50, 0
	v_fma_mixlo_f16 v50, s12, v53, 0
	;; [unrolled: 1-line block ×4, first 2 shown]
	s_delay_alu instid0(VALU_DEP_4) | instskip(NEXT) | instid1(VALU_DEP_4)
	v_fma_mixhi_f16 v51, s12, v56, 0
	v_fma_mixhi_f16 v50, s12, v55, 0
	s_delay_alu instid0(VALU_DEP_4) | instskip(NEXT) | instid1(VALU_DEP_4)
	v_fma_mixhi_f16 v49, s12, v54, 0
	v_fma_mixhi_f16 v48, s12, v52, 0
	global_store_b128 v67, v[48:51], s[0:1]
	s_or_b32 exec_lo, exec_lo, s2
	s_and_saveexec_b32 s2, s6
	s_cbranch_execz .LBB24_25
.LBB24_30:
	v_sub_f32_e32 v0, v0, v12
	v_dual_sub_f32 v12, v1, v13 :: v_dual_sub_f32 v1, v2, v14
	v_dual_sub_f32 v2, v7, v15 :: v_dual_sub_f32 v5, v5, v10
	;; [unrolled: 1-line block ×3, first 2 shown]
	v_sub_f32_e32 v6, v6, v11
	s_wait_kmcnt 0x0
	s_delay_alu instid0(VALU_DEP_3) | instskip(SKIP_3) | instid1(VALU_DEP_4)
	v_fma_mixlo_f16 v3, s12, v2, 0
	v_fma_mixlo_f16 v2, s12, v5, 0
	;; [unrolled: 1-line block ×4, first 2 shown]
	v_fma_mixhi_f16 v3, s12, v6, 0
	s_delay_alu instid0(VALU_DEP_4) | instskip(NEXT) | instid1(VALU_DEP_4)
	v_fma_mixhi_f16 v2, s12, v4, 0
	v_fma_mixhi_f16 v1, s12, v7, 0
	s_delay_alu instid0(VALU_DEP_4)
	v_fma_mixhi_f16 v0, s12, v12, 0
	global_store_b128 v68, v[0:3], s[0:1]
	s_or_b32 exec_lo, exec_lo, s2
	s_and_saveexec_b32 s2, s7
	s_cbranch_execz .LBB24_26
.LBB24_31:
	v_dual_sub_f32 v0, v20, v28 :: v_dual_sub_f32 v1, v22, v30
	v_dual_sub_f32 v4, v21, v29 :: v_dual_sub_f32 v5, v18, v26
	;; [unrolled: 1-line block ×3, first 2 shown]
	v_sub_f32_e32 v6, v16, v24
	v_sub_f32_e32 v8, v19, v27
	s_wait_kmcnt 0x0
	v_fma_mixlo_f16 v1, s12, v1, 0
	v_fma_mixlo_f16 v3, s12, v2, 0
	;; [unrolled: 1-line block ×4, first 2 shown]
	s_delay_alu instid0(VALU_DEP_4) | instskip(NEXT) | instid1(VALU_DEP_4)
	v_fma_mixhi_f16 v1, s12, v6, 0
	v_fma_mixhi_f16 v3, s12, v8, 0
	s_delay_alu instid0(VALU_DEP_4) | instskip(NEXT) | instid1(VALU_DEP_4)
	v_fma_mixhi_f16 v2, s12, v7, 0
	v_fma_mixhi_f16 v0, s12, v4, 0
	global_store_b128 v70, v[0:3], s[0:1]
	s_or_b32 exec_lo, exec_lo, s2
	s_and_saveexec_b32 s2, s8
	s_cbranch_execz .LBB24_27
.LBB24_32:
	v_dual_sub_f32 v0, v37, v45 :: v_dual_sub_f32 v1, v39, v47
	v_dual_sub_f32 v2, v35, v43 :: v_dual_sub_f32 v7, v33, v41
	v_sub_f32_e32 v6, v32, v40
	v_dual_sub_f32 v4, v36, v44 :: v_dual_sub_f32 v5, v38, v46
	v_sub_f32_e32 v8, v34, v42
	s_wait_kmcnt 0x0
	v_fma_mixlo_f16 v3, s12, v1, 0
	v_fma_mixlo_f16 v2, s12, v2, 0
	v_fma_mixlo_f16 v1, s12, v6, 0
	v_fma_mixlo_f16 v0, s12, v0, 0
	s_delay_alu instid0(VALU_DEP_4) | instskip(NEXT) | instid1(VALU_DEP_4)
	v_fma_mixhi_f16 v3, s12, v8, 0
	v_fma_mixhi_f16 v2, s12, v7, 0
	s_delay_alu instid0(VALU_DEP_4) | instskip(NEXT) | instid1(VALU_DEP_4)
	v_fma_mixhi_f16 v1, s12, v5, 0
	v_fma_mixhi_f16 v0, s12, v4, 0
	global_store_b128 v71, v[0:3], s[0:1]
	s_nop 0
	s_sendmsg sendmsg(MSG_DEALLOC_VGPRS)
	s_endpgm
	.section	.rodata,"a",@progbits
	.p2align	6, 0x0
	.amdhsa_kernel _Z30fast_hadamard_transform_kernelI37fast_hadamard_transform_kernel_traitsILi256ELi14E6__halfEEv18HadamardParamsBase
		.amdhsa_group_segment_fixed_size 0
		.amdhsa_private_segment_fixed_size 0
		.amdhsa_kernarg_size 312
		.amdhsa_user_sgpr_count 2
		.amdhsa_user_sgpr_dispatch_ptr 0
		.amdhsa_user_sgpr_queue_ptr 0
		.amdhsa_user_sgpr_kernarg_segment_ptr 1
		.amdhsa_user_sgpr_dispatch_id 0
		.amdhsa_user_sgpr_private_segment_size 0
		.amdhsa_wavefront_size32 1
		.amdhsa_uses_dynamic_stack 0
		.amdhsa_enable_private_segment 0
		.amdhsa_system_sgpr_workgroup_id_x 1
		.amdhsa_system_sgpr_workgroup_id_y 0
		.amdhsa_system_sgpr_workgroup_id_z 0
		.amdhsa_system_sgpr_workgroup_info 0
		.amdhsa_system_vgpr_workitem_id 0
		.amdhsa_next_free_vgpr 138
		.amdhsa_next_free_sgpr 22
		.amdhsa_reserve_vcc 1
		.amdhsa_float_round_mode_32 0
		.amdhsa_float_round_mode_16_64 0
		.amdhsa_float_denorm_mode_32 3
		.amdhsa_float_denorm_mode_16_64 3
		.amdhsa_fp16_overflow 0
		.amdhsa_workgroup_processor_mode 1
		.amdhsa_memory_ordered 1
		.amdhsa_forward_progress 1
		.amdhsa_inst_pref_size 125
		.amdhsa_round_robin_scheduling 0
		.amdhsa_exception_fp_ieee_invalid_op 0
		.amdhsa_exception_fp_denorm_src 0
		.amdhsa_exception_fp_ieee_div_zero 0
		.amdhsa_exception_fp_ieee_overflow 0
		.amdhsa_exception_fp_ieee_underflow 0
		.amdhsa_exception_fp_ieee_inexact 0
		.amdhsa_exception_int_div_zero 0
	.end_amdhsa_kernel
	.section	.text._Z30fast_hadamard_transform_kernelI37fast_hadamard_transform_kernel_traitsILi256ELi14E6__halfEEv18HadamardParamsBase,"axG",@progbits,_Z30fast_hadamard_transform_kernelI37fast_hadamard_transform_kernel_traitsILi256ELi14E6__halfEEv18HadamardParamsBase,comdat
.Lfunc_end24:
	.size	_Z30fast_hadamard_transform_kernelI37fast_hadamard_transform_kernel_traitsILi256ELi14E6__halfEEv18HadamardParamsBase, .Lfunc_end24-_Z30fast_hadamard_transform_kernelI37fast_hadamard_transform_kernel_traitsILi256ELi14E6__halfEEv18HadamardParamsBase
                                        ; -- End function
	.set _Z30fast_hadamard_transform_kernelI37fast_hadamard_transform_kernel_traitsILi256ELi14E6__halfEEv18HadamardParamsBase.num_vgpr, 138
	.set _Z30fast_hadamard_transform_kernelI37fast_hadamard_transform_kernel_traitsILi256ELi14E6__halfEEv18HadamardParamsBase.num_agpr, 0
	.set _Z30fast_hadamard_transform_kernelI37fast_hadamard_transform_kernel_traitsILi256ELi14E6__halfEEv18HadamardParamsBase.numbered_sgpr, 22
	.set _Z30fast_hadamard_transform_kernelI37fast_hadamard_transform_kernel_traitsILi256ELi14E6__halfEEv18HadamardParamsBase.num_named_barrier, 0
	.set _Z30fast_hadamard_transform_kernelI37fast_hadamard_transform_kernel_traitsILi256ELi14E6__halfEEv18HadamardParamsBase.private_seg_size, 0
	.set _Z30fast_hadamard_transform_kernelI37fast_hadamard_transform_kernel_traitsILi256ELi14E6__halfEEv18HadamardParamsBase.uses_vcc, 1
	.set _Z30fast_hadamard_transform_kernelI37fast_hadamard_transform_kernel_traitsILi256ELi14E6__halfEEv18HadamardParamsBase.uses_flat_scratch, 0
	.set _Z30fast_hadamard_transform_kernelI37fast_hadamard_transform_kernel_traitsILi256ELi14E6__halfEEv18HadamardParamsBase.has_dyn_sized_stack, 0
	.set _Z30fast_hadamard_transform_kernelI37fast_hadamard_transform_kernel_traitsILi256ELi14E6__halfEEv18HadamardParamsBase.has_recursion, 0
	.set _Z30fast_hadamard_transform_kernelI37fast_hadamard_transform_kernel_traitsILi256ELi14E6__halfEEv18HadamardParamsBase.has_indirect_call, 0
	.section	.AMDGPU.csdata,"",@progbits
; Kernel info:
; codeLenInByte = 15908
; TotalNumSgprs: 24
; NumVgprs: 138
; ScratchSize: 0
; MemoryBound: 0
; FloatMode: 240
; IeeeMode: 1
; LDSByteSize: 0 bytes/workgroup (compile time only)
; SGPRBlocks: 0
; VGPRBlocks: 17
; NumSGPRsForWavesPerEU: 24
; NumVGPRsForWavesPerEU: 138
; Occupancy: 10
; WaveLimiterHint : 0
; COMPUTE_PGM_RSRC2:SCRATCH_EN: 0
; COMPUTE_PGM_RSRC2:USER_SGPR: 2
; COMPUTE_PGM_RSRC2:TRAP_HANDLER: 0
; COMPUTE_PGM_RSRC2:TGID_X_EN: 1
; COMPUTE_PGM_RSRC2:TGID_Y_EN: 0
; COMPUTE_PGM_RSRC2:TGID_Z_EN: 0
; COMPUTE_PGM_RSRC2:TIDIG_COMP_CNT: 0
	.section	.text._Z30fast_hadamard_transform_kernelI37fast_hadamard_transform_kernel_traitsILi256ELi15E6__halfEEv18HadamardParamsBase,"axG",@progbits,_Z30fast_hadamard_transform_kernelI37fast_hadamard_transform_kernel_traitsILi256ELi15E6__halfEEv18HadamardParamsBase,comdat
	.protected	_Z30fast_hadamard_transform_kernelI37fast_hadamard_transform_kernel_traitsILi256ELi15E6__halfEEv18HadamardParamsBase ; -- Begin function _Z30fast_hadamard_transform_kernelI37fast_hadamard_transform_kernel_traitsILi256ELi15E6__halfEEv18HadamardParamsBase
	.globl	_Z30fast_hadamard_transform_kernelI37fast_hadamard_transform_kernel_traitsILi256ELi15E6__halfEEv18HadamardParamsBase
	.p2align	8
	.type	_Z30fast_hadamard_transform_kernelI37fast_hadamard_transform_kernel_traitsILi256ELi15E6__halfEEv18HadamardParamsBase,@function
_Z30fast_hadamard_transform_kernelI37fast_hadamard_transform_kernel_traitsILi256ELi15E6__halfEEv18HadamardParamsBase: ; @_Z30fast_hadamard_transform_kernelI37fast_hadamard_transform_kernel_traitsILi256ELi15E6__halfEEv18HadamardParamsBase
; %bb.0:
	s_clause 0x3
	s_load_b128 s[24:27], s[0:1], 0x10
	s_load_b32 s17, s[0:1], 0x4
	s_load_b128 s[20:23], s[0:1], 0x28
	s_load_b32 s2, s[0:1], 0x44
	v_dual_mov_b32 v5, 0 :: v_dual_lshlrev_b32 v6, 3, v0
	s_mov_b32 s28, ttmp9
	s_ashr_i32 s29, ttmp9, 31
	v_dual_mov_b32 v1, 0 :: v_dual_mov_b32 v2, 0
	v_dual_mov_b32 v3, 0 :: v_dual_mov_b32 v4, 0
	;; [unrolled: 1-line block ×3, first 2 shown]
	v_dual_mov_b32 v11, 0 :: v_dual_lshlrev_b32 v146, 4, v0
	v_mov_b32_e32 v12, 0
	s_wait_kmcnt 0x0
	s_mul_u64 s[4:5], s[24:25], s[28:29]
	v_cmp_gt_u32_e64 s16, s17, v6
	s_lshl_b64 s[4:5], s[4:5], 1
	s_delay_alu instid0(SALU_CYCLE_1)
	s_add_nc_u64 s[18:19], s[20:21], s[4:5]
	s_and_saveexec_b32 s3, s16
	s_cbranch_execz .LBB25_2
; %bb.1:
	global_load_b128 v[2:5], v146, s[18:19]
	s_wait_loadcnt 0x0
	v_lshrrev_b32_e32 v6, 16, v2
	v_lshrrev_b32_e32 v8, 16, v3
	;; [unrolled: 1-line block ×4, first 2 shown]
	v_cvt_f32_f16_e32 v11, v2
	v_cvt_f32_f16_e32 v7, v3
	;; [unrolled: 1-line block ×8, first 2 shown]
.LBB25_2:
	s_or_b32 exec_lo, exec_lo, s3
	s_and_b32 s20, 0xffff, s2
	v_dual_mov_b32 v10, 0 :: v_dual_mov_b32 v9, 0
	v_dual_mov_b32 v6, 0 :: v_dual_add_nc_u32 v13, s20, v0
	v_dual_mov_b32 v16, 0 :: v_dual_mov_b32 v21, 0
	s_delay_alu instid0(VALU_DEP_2) | instskip(SKIP_1) | instid1(VALU_DEP_2)
	v_dual_mov_b32 v17, 0 :: v_dual_lshlrev_b32 v14, 3, v13
	v_dual_mov_b32 v20, 0 :: v_dual_lshlrev_b32 v15, 4, v13
	v_cmp_gt_u32_e64 s10, s17, v14
	scratch_store_b32 off, v15, off offset:44 ; 4-byte Folded Spill
	s_and_saveexec_b32 s2, s10
	s_cbranch_execz .LBB25_4
; %bb.3:
	v_lshlrev_b32_e32 v1, 4, v13
	global_load_b128 v[15:18], v1, s[18:19]
	s_wait_loadcnt 0x0
	v_lshrrev_b32_e32 v1, 16, v15
	v_lshrrev_b32_e32 v10, 16, v16
	;; [unrolled: 1-line block ×4, first 2 shown]
	v_cvt_f32_f16_e32 v20, v15
	v_cvt_f32_f16_e32 v16, v16
	;; [unrolled: 1-line block ×8, first 2 shown]
.LBB25_4:
	s_or_b32 exec_lo, exec_lo, s2
	v_dual_mov_b32 v13, 0 :: v_dual_add_nc_u32 v22, s20, v13
	v_dual_mov_b32 v15, 0 :: v_dual_mov_b32 v14, 0
	v_dual_mov_b32 v19, 0 :: v_dual_mov_b32 v18, 0
	s_delay_alu instid0(VALU_DEP_3) | instskip(SKIP_2) | instid1(VALU_DEP_3)
	v_dual_mov_b32 v24, 0 :: v_dual_lshlrev_b32 v25, 3, v22
	v_dual_mov_b32 v23, 0 :: v_dual_lshlrev_b32 v26, 4, v22
	v_dual_mov_b32 v28, 0 :: v_dual_mov_b32 v27, 0
	v_cmp_gt_u32_e64 s7, s17, v25
	scratch_store_b32 off, v26, off offset:32 ; 4-byte Folded Spill
	s_and_saveexec_b32 s2, s7
	s_cbranch_execz .LBB25_6
; %bb.5:
	v_lshlrev_b32_e32 v14, 4, v22
	global_load_b128 v[23:26], v14, s[18:19]
	s_wait_loadcnt 0x0
	v_lshrrev_b32_e32 v15, 16, v23
	v_lshrrev_b32_e32 v19, 16, v24
	;; [unrolled: 1-line block ×4, first 2 shown]
	v_cvt_f32_f16_e32 v27, v23
	v_cvt_f32_f16_e32 v23, v24
	;; [unrolled: 1-line block ×8, first 2 shown]
.LBB25_6:
	s_or_b32 exec_lo, exec_lo, s2
	v_dual_mov_b32 v22, 0 :: v_dual_add_nc_u32 v29, s20, v22
	v_dual_mov_b32 v26, 0 :: v_dual_mov_b32 v25, 0
	v_dual_mov_b32 v32, 0 :: v_dual_mov_b32 v37, 0
	s_delay_alu instid0(VALU_DEP_3) | instskip(SKIP_1) | instid1(VALU_DEP_2)
	v_dual_mov_b32 v33, 0 :: v_dual_lshlrev_b32 v30, 3, v29
	v_dual_mov_b32 v36, 0 :: v_dual_lshlrev_b32 v31, 4, v29
	v_cmp_gt_u32_e32 vcc_lo, s17, v30
	scratch_store_b32 off, v31, off offset:12 ; 4-byte Folded Spill
	s_and_saveexec_b32 s2, vcc_lo
	s_cbranch_execz .LBB25_8
; %bb.7:
	v_lshlrev_b32_e32 v13, 4, v29
	global_load_b128 v[31:34], v13, s[18:19]
	s_wait_loadcnt 0x0
	v_lshrrev_b32_e32 v13, 16, v31
	v_lshrrev_b32_e32 v26, 16, v32
	v_lshrrev_b32_e32 v30, 16, v33
	v_lshrrev_b32_e32 v35, 16, v34
	v_cvt_f32_f16_e32 v36, v31
	v_cvt_f32_f16_e32 v32, v32
	v_cvt_f32_f16_e32 v25, v33
	v_cvt_f32_f16_e32 v22, v34
	v_cvt_f32_f16_e32 v37, v13
	v_cvt_f32_f16_e32 v33, v26
	v_cvt_f32_f16_e32 v26, v30
	v_cvt_f32_f16_e32 v13, v35
.LBB25_8:
	s_or_b32 exec_lo, exec_lo, s2
	v_dual_mov_b32 v29, 0 :: v_dual_add_nc_u32 v38, s20, v29
	v_dual_mov_b32 v31, 0 :: v_dual_mov_b32 v30, 0
	v_dual_mov_b32 v35, 0 :: v_dual_mov_b32 v34, 0
	s_delay_alu instid0(VALU_DEP_3) | instskip(SKIP_2) | instid1(VALU_DEP_3)
	v_dual_mov_b32 v40, 0 :: v_dual_lshlrev_b32 v41, 3, v38
	v_dual_mov_b32 v39, 0 :: v_dual_lshlrev_b32 v42, 4, v38
	v_dual_mov_b32 v44, 0 :: v_dual_mov_b32 v43, 0
	v_cmp_gt_u32_e64 s2, s17, v41
	scratch_store_b32 off, v42, off offset:8 ; 4-byte Folded Spill
	s_and_saveexec_b32 s3, s2
	s_cbranch_execz .LBB25_10
; %bb.9:
	v_lshlrev_b32_e32 v30, 4, v38
	global_load_b128 v[39:42], v30, s[18:19]
	s_wait_loadcnt 0x0
	v_lshrrev_b32_e32 v31, 16, v39
	v_lshrrev_b32_e32 v35, 16, v40
	v_lshrrev_b32_e32 v45, 16, v41
	v_lshrrev_b32_e32 v46, 16, v42
	v_cvt_f32_f16_e32 v43, v39
	v_cvt_f32_f16_e32 v39, v40
	v_cvt_f32_f16_e32 v34, v41
	v_cvt_f32_f16_e32 v30, v42
	v_cvt_f32_f16_e32 v44, v31
	v_cvt_f32_f16_e32 v40, v35
	v_cvt_f32_f16_e32 v35, v45
	v_cvt_f32_f16_e32 v31, v46
.LBB25_10:
	s_or_b32 exec_lo, exec_lo, s3
	v_dual_mov_b32 v38, 0 :: v_dual_add_nc_u32 v45, s20, v38
	v_dual_mov_b32 v42, 0 :: v_dual_mov_b32 v41, 0
	v_dual_mov_b32 v48, 0 :: v_dual_mov_b32 v53, 0
	s_delay_alu instid0(VALU_DEP_3) | instskip(SKIP_1) | instid1(VALU_DEP_2)
	v_dual_mov_b32 v49, 0 :: v_dual_lshlrev_b32 v46, 3, v45
	v_dual_mov_b32 v52, 0 :: v_dual_lshlrev_b32 v47, 4, v45
	v_cmp_gt_u32_e64 s3, s17, v46
	scratch_store_b32 off, v47, off offset:20 ; 4-byte Folded Spill
	s_and_saveexec_b32 s4, s3
	s_cbranch_execz .LBB25_12
; %bb.11:
	v_lshlrev_b32_e32 v29, 4, v45
	global_load_b128 v[47:50], v29, s[18:19]
	s_wait_loadcnt 0x0
	v_lshrrev_b32_e32 v29, 16, v47
	v_lshrrev_b32_e32 v42, 16, v48
	v_lshrrev_b32_e32 v46, 16, v49
	v_lshrrev_b32_e32 v51, 16, v50
	v_cvt_f32_f16_e32 v52, v47
	v_cvt_f32_f16_e32 v48, v48
	v_cvt_f32_f16_e32 v41, v49
	v_cvt_f32_f16_e32 v38, v50
	v_cvt_f32_f16_e32 v53, v29
	v_cvt_f32_f16_e32 v49, v42
	v_cvt_f32_f16_e32 v42, v46
	v_cvt_f32_f16_e32 v29, v51
.LBB25_12:
	s_or_b32 exec_lo, exec_lo, s4
	v_dual_mov_b32 v45, 0 :: v_dual_add_nc_u32 v54, s20, v45
	v_dual_mov_b32 v47, 0 :: v_dual_mov_b32 v46, 0
	v_dual_mov_b32 v51, 0 :: v_dual_mov_b32 v50, 0
	s_delay_alu instid0(VALU_DEP_3) | instskip(SKIP_2) | instid1(VALU_DEP_3)
	v_dual_mov_b32 v56, 0 :: v_dual_lshlrev_b32 v57, 3, v54
	v_dual_mov_b32 v55, 0 :: v_dual_lshlrev_b32 v58, 4, v54
	v_dual_mov_b32 v60, 0 :: v_dual_mov_b32 v59, 0
	v_cmp_gt_u32_e64 s4, s17, v57
	scratch_store_b32 off, v58, off offset:16 ; 4-byte Folded Spill
	s_and_saveexec_b32 s5, s4
	s_cbranch_execz .LBB25_14
; %bb.13:
	v_lshlrev_b32_e32 v46, 4, v54
	global_load_b128 v[55:58], v46, s[18:19]
	s_wait_loadcnt 0x0
	v_lshrrev_b32_e32 v47, 16, v55
	v_lshrrev_b32_e32 v51, 16, v56
	v_lshrrev_b32_e32 v61, 16, v57
	v_lshrrev_b32_e32 v62, 16, v58
	v_cvt_f32_f16_e32 v59, v55
	v_cvt_f32_f16_e32 v55, v56
	v_cvt_f32_f16_e32 v50, v57
	v_cvt_f32_f16_e32 v46, v58
	v_cvt_f32_f16_e32 v60, v47
	v_cvt_f32_f16_e32 v56, v51
	v_cvt_f32_f16_e32 v51, v61
	v_cvt_f32_f16_e32 v47, v62
.LBB25_14:
	s_or_b32 exec_lo, exec_lo, s5
	v_dual_mov_b32 v54, 0 :: v_dual_add_nc_u32 v61, s20, v54
	v_dual_mov_b32 v58, 0 :: v_dual_mov_b32 v57, 0
	v_dual_mov_b32 v64, 0 :: v_dual_mov_b32 v69, 0
	s_delay_alu instid0(VALU_DEP_3) | instskip(SKIP_1) | instid1(VALU_DEP_2)
	v_dual_mov_b32 v65, 0 :: v_dual_lshlrev_b32 v62, 3, v61
	v_dual_mov_b32 v68, 0 :: v_dual_lshlrev_b32 v63, 4, v61
	v_cmp_gt_u32_e64 s5, s17, v62
	scratch_store_b32 off, v63, off offset:24 ; 4-byte Folded Spill
	s_and_saveexec_b32 s6, s5
	;; [unrolled: 57-line block ×4, first 2 shown]
	s_cbranch_execz .LBB25_24
; %bb.23:
	v_lshlrev_b32_e32 v77, 4, v93
	global_load_b128 v[95:98], v77, s[18:19]
	s_wait_loadcnt 0x0
	v_lshrrev_b32_e32 v77, 16, v95
	v_lshrrev_b32_e32 v90, 16, v96
	;; [unrolled: 1-line block ×4, first 2 shown]
	v_cvt_f32_f16_e32 v100, v95
	v_cvt_f32_f16_e32 v96, v96
	;; [unrolled: 1-line block ×8, first 2 shown]
.LBB25_24:
	s_or_b32 exec_lo, exec_lo, s12
	v_dual_mov_b32 v95, 0 :: v_dual_add_nc_u32 v102, s20, v93
	v_dual_mov_b32 v94, 0 :: v_dual_mov_b32 v93, 0
	v_dual_mov_b32 v99, 0 :: v_dual_mov_b32 v98, 0
	s_delay_alu instid0(VALU_DEP_3) | instskip(SKIP_2) | instid1(VALU_DEP_3)
	v_dual_mov_b32 v104, 0 :: v_dual_lshlrev_b32 v105, 3, v102
	v_dual_mov_b32 v103, 0 :: v_dual_lshlrev_b32 v106, 4, v102
	v_dual_mov_b32 v108, 0 :: v_dual_mov_b32 v107, 0
	v_cmp_gt_u32_e64 s12, s17, v105
	scratch_store_b32 off, v106, off offset:52 ; 4-byte Folded Spill
	s_and_saveexec_b32 s13, s12
	s_cbranch_execz .LBB25_26
; %bb.25:
	v_lshlrev_b32_e32 v93, 4, v102
	global_load_b128 v[103:106], v93, s[18:19]
	s_wait_loadcnt 0x0
	v_lshrrev_b32_e32 v94, 16, v103
	v_lshrrev_b32_e32 v99, 16, v104
	;; [unrolled: 1-line block ×4, first 2 shown]
	v_cvt_f32_f16_e32 v107, v103
	v_cvt_f32_f16_e32 v103, v104
	v_cvt_f32_f16_e32 v98, v105
	v_cvt_f32_f16_e32 v93, v106
	v_cvt_f32_f16_e32 v108, v94
	v_cvt_f32_f16_e32 v104, v99
	v_cvt_f32_f16_e32 v99, v109
	v_cvt_f32_f16_e32 v94, v110
.LBB25_26:
	s_or_b32 exec_lo, exec_lo, s13
	v_dual_mov_b32 v105, 0 :: v_dual_add_nc_u32 v110, s20, v102
	v_mov_b32_e32 v102, 0
	v_dual_mov_b32 v106, 0 :: v_dual_mov_b32 v113, 0
	s_delay_alu instid0(VALU_DEP_3) | instskip(SKIP_1) | instid1(VALU_DEP_2)
	v_dual_mov_b32 v112, 0 :: v_dual_lshlrev_b32 v109, 3, v110
	v_dual_mov_b32 v117, 0 :: v_dual_mov_b32 v116, 0
	v_cmp_gt_u32_e64 s13, s17, v109
	s_and_saveexec_b32 s15, s13
	s_cbranch_execz .LBB25_28
; %bb.27:
	v_mov_b32_e32 v115, v110
	v_mov_b32_e32 v111, 0
	s_delay_alu instid0(VALU_DEP_1) | instskip(NEXT) | instid1(VALU_DEP_1)
	v_lshlrev_b64_e32 v[105:106], 4, v[110:111]
	v_add_co_u32 v105, s14, s18, v105
	s_delay_alu instid0(VALU_DEP_1)
	v_add_co_ci_u32_e64 v106, null, s19, v106, s14
	global_load_b128 v[111:114], v[105:106], off
	s_wait_loadcnt 0x0
	v_lshrrev_b32_e32 v95, 16, v111
	v_lshrrev_b32_e32 v106, 16, v112
	;; [unrolled: 1-line block ×4, first 2 shown]
	v_cvt_f32_f16_e32 v116, v111
	v_cvt_f32_f16_e32 v112, v112
	;; [unrolled: 1-line block ×8, first 2 shown]
	v_mov_b32_e32 v110, v115
.LBB25_28:
	s_or_b32 exec_lo, exec_lo, s15
	s_delay_alu instid0(VALU_DEP_1)
	v_dual_mov_b32 v109, v110 :: v_dual_add_nc_u32 v126, s20, v110
	v_dual_mov_b32 v115, 0 :: v_dual_mov_b32 v114, 0
	v_dual_mov_b32 v120, 0 :: v_dual_mov_b32 v119, 0
	scratch_store_b64 off, v[109:110], off offset:56 ; 8-byte Folded Spill
	v_dual_mov_b32 v109, 0 :: v_dual_lshlrev_b32 v118, 3, v126
	v_dual_mov_b32 v110, 0 :: v_dual_mov_b32 v111, 0
	v_dual_mov_b32 v124, 0 :: v_dual_mov_b32 v123, 0
	s_delay_alu instid0(VALU_DEP_3)
	v_cmp_gt_u32_e64 s14, s17, v118
	s_and_saveexec_b32 s21, s14
	s_cbranch_execz .LBB25_30
; %bb.29:
	v_mov_b32_e32 v127, 0
	s_delay_alu instid0(VALU_DEP_1) | instskip(NEXT) | instid1(VALU_DEP_1)
	v_lshlrev_b64_e32 v[114:115], 4, v[126:127]
	v_add_co_u32 v114, s15, s18, v114
	s_wait_alu 0xf1ff
	s_delay_alu instid0(VALU_DEP_2)
	v_add_co_ci_u32_e64 v115, null, s19, v115, s15
	global_load_b128 v[118:121], v[114:115], off
	s_wait_loadcnt 0x0
	v_lshrrev_b32_e32 v111, 16, v118
	v_lshrrev_b32_e32 v115, 16, v119
	;; [unrolled: 1-line block ×4, first 2 shown]
	v_cvt_f32_f16_e32 v123, v118
	v_cvt_f32_f16_e32 v119, v119
	;; [unrolled: 1-line block ×8, first 2 shown]
.LBB25_30:
	s_wait_alu 0xfffe
	s_or_b32 exec_lo, exec_lo, s21
	v_dual_mov_b32 v118, v126 :: v_dual_add_nc_u32 v125, s20, v126
	v_mov_b32_e32 v122, 0
	v_mov_b32_e32 v128, 0
	s_delay_alu instid0(VALU_DEP_3)
	v_dual_mov_b32 v126, 0 :: v_dual_mov_b32 v121, v125
	scratch_store_b64 off, v[118:119], off offset:64 ; 8-byte Folded Spill
	v_dual_mov_b32 v118, 0 :: v_dual_lshlrev_b32 v127, 3, v125
	v_mov_b32_e32 v125, 0
	scratch_store_b64 off, v[121:122], off  ; 8-byte Folded Spill
	v_mov_b32_e32 v121, 0
	v_cmp_gt_u32_e64 s15, s17, v127
	v_mov_b32_e32 v127, 0
	s_and_saveexec_b32 s20, s15
	s_cbranch_execz .LBB25_32
; %bb.31:
	scratch_load_b64 v[121:122], off, off th:TH_LOAD_LU ; 8-byte Folded Reload
	s_wait_loadcnt 0x0
	v_mov_b32_e32 v122, 0
	v_mov_b32_e32 v110, v121
	s_delay_alu instid0(VALU_DEP_2)
	v_lshlrev_b64_e32 v[121:122], 4, v[121:122]
	scratch_store_b64 off, v[110:111], off  ; 8-byte Folded Spill
	v_add_co_u32 v121, s17, s18, v121
	s_wait_alu 0xf1ff
	v_add_co_ci_u32_e64 v122, null, s19, v122, s17
	global_load_b128 v[127:130], v[121:122], off
	s_wait_loadcnt 0x0
	v_lshrrev_b32_e32 v110, 16, v127
	v_lshrrev_b32_e32 v122, 16, v128
	;; [unrolled: 1-line block ×4, first 2 shown]
	v_cvt_f32_f16_e32 v127, v127
	v_cvt_f32_f16_e64 v125, v128
	v_cvt_f32_f16_e64 v121, v129
	;; [unrolled: 1-line block ×4, first 2 shown]
	v_cvt_f32_f16_e32 v126, v122
	v_cvt_f32_f16_e64 v122, v131
	v_cvt_f32_f16_e64 v110, v132
.LBB25_32:
	s_wait_alu 0xfffe
	s_or_b32 exec_lo, exec_lo, s20
	v_add_f32_e32 v129, v11, v12
	v_dual_sub_f32 v11, v11, v12 :: v_dual_add_f32 v12, v20, v21
	v_dual_sub_f32 v20, v20, v21 :: v_dual_add_f32 v21, v27, v28
	;; [unrolled: 1-line block ×4, first 2 shown]
	v_sub_f32_e32 v43, v43, v44
	v_add_f32_e32 v44, v53, v52
	v_sub_f32_e32 v52, v52, v53
	v_add_f32_e32 v53, v60, v59
	;; [unrolled: 2-line block ×10, first 2 shown]
	v_dual_sub_f32 v123, v123, v124 :: v_dual_add_f32 v124, v128, v127
	v_sub_f32_e32 v127, v127, v128
	v_add_f32_e32 v128, v7, v8
	v_dual_sub_f32 v7, v7, v8 :: v_dual_add_f32 v8, v16, v17
	v_dual_sub_f32 v16, v16, v17 :: v_dual_add_f32 v17, v23, v24
	;; [unrolled: 1-line block ×9, first 2 shown]
	v_sub_f32_e32 v80, v80, v81
	v_add_f32_e32 v81, v88, v87
	v_sub_f32_e32 v87, v87, v88
	v_add_f32_e32 v88, v97, v96
	;; [unrolled: 2-line block ×5, first 2 shown]
	v_dual_sub_f32 v119, v119, v120 :: v_dual_add_f32 v120, v126, v125
	v_dual_sub_f32 v125, v125, v126 :: v_dual_add_f32 v126, v4, v5
	;; [unrolled: 1-line block ×16, first 2 shown]
	v_sub_f32_e32 v114, v114, v115
	v_add_f32_e32 v115, v122, v121
	v_dual_sub_f32 v121, v121, v122 :: v_dual_add_f32 v122, v2, v3
	v_sub_f32_e32 v2, v2, v3
	v_add_f32_e32 v3, v6, v1
	v_sub_f32_e32 v1, v6, v1
	v_add_f32_e32 v6, v14, v15
	v_sub_f32_e32 v14, v14, v15
	v_dual_add_f32 v15, v22, v13 :: v_dual_sub_f32 v130, v12, v8
	v_sub_f32_e32 v13, v22, v13
	v_add_f32_e32 v22, v30, v31
	v_sub_f32_e32 v30, v30, v31
	v_add_f32_e32 v31, v38, v29
	;; [unrolled: 2-line block ×8, first 2 shown]
	v_dual_sub_f32 v77, v86, v77 :: v_dual_add_f32 v86, v93, v94
	v_dual_sub_f32 v93, v93, v94 :: v_dual_add_f32 v94, v102, v95
	v_sub_f32_e32 v95, v102, v95
	v_add_f32_e32 v102, v109, v111
	v_sub_f32_e32 v109, v109, v111
	v_add_f32_e32 v111, v118, v110
	;; [unrolled: 2-line block ×3, first 2 shown]
	v_sub_f32_e32 v128, v129, v128
	v_dual_add_f32 v129, v8, v12 :: v_dual_add_f32 v8, v17, v21
	v_dual_sub_f32 v21, v21, v17 :: v_dual_add_f32 v12, v24, v28
	v_dual_sub_f32 v24, v28, v24 :: v_dual_add_f32 v17, v33, v37
	v_dual_sub_f32 v28, v37, v33 :: v_dual_add_f32 v33, v40, v44
	v_dual_sub_f32 v37, v44, v40 :: v_dual_add_f32 v40, v49, v53
	v_dual_sub_f32 v44, v53, v49 :: v_dual_add_f32 v49, v56, v60
	v_dual_sub_f32 v53, v60, v56 :: v_dual_add_f32 v56, v65, v69
	v_dual_sub_f32 v60, v69, v65 :: v_dual_add_f32 v65, v72, v76
	v_dual_sub_f32 v69, v76, v72 :: v_dual_add_f32 v72, v81, v85
	v_dual_sub_f32 v131, v20, v16 :: v_dual_sub_f32 v76, v85, v81
	v_add_f32_e32 v81, v88, v92
	v_dual_sub_f32 v88, v92, v88 :: v_dual_add_f32 v85, v97, v101
	v_dual_sub_f32 v92, v101, v97 :: v_dual_add_f32 v97, v104, v108
	;; [unrolled: 1-line block ×6, first 2 shown]
	v_add_f32_e32 v16, v27, v23
	v_sub_f32_e32 v23, v27, v23
	v_add_f32_e32 v27, v36, v32
	v_sub_f32_e32 v36, v36, v32
	;; [unrolled: 2-line block ×6, first 2 shown]
	v_add_f32_e32 v68, v75, v71
	v_dual_sub_f32 v71, v75, v71 :: v_dual_sub_f32 v132, v84, v80
	v_dual_add_f32 v75, v84, v80 :: v_dual_add_f32 v84, v91, v87
	v_sub_f32_e32 v87, v91, v87
	v_add_f32_e32 v91, v100, v96
	v_sub_f32_e32 v96, v100, v96
	v_add_f32_e32 v100, v107, v103
	;; [unrolled: 2-line block ×3, first 2 shown]
	v_sub_f32_e32 v112, v116, v112
	v_dual_add_f32 v116, v123, v119 :: v_dual_add_f32 v7, v122, v126
	v_dual_sub_f32 v119, v123, v119 :: v_dual_sub_f32 v122, v126, v122
	v_dual_add_f32 v123, v127, v125 :: v_dual_sub_f32 v126, v5, v3
	v_sub_f32_e32 v125, v127, v125
	v_dual_add_f32 v20, v3, v5 :: v_dual_add_f32 v3, v6, v10
	v_dual_sub_f32 v6, v10, v6 :: v_dual_add_f32 v5, v15, v19
	v_dual_add_f32 v10, v22, v26 :: v_dual_sub_f32 v19, v19, v15
	v_dual_sub_f32 v22, v26, v22 :: v_dual_add_f32 v15, v31, v35
	v_dual_add_f32 v26, v38, v42 :: v_dual_sub_f32 v31, v35, v31
	v_dual_sub_f32 v35, v42, v38 :: v_dual_add_f32 v38, v47, v51
	v_dual_sub_f32 v42, v51, v47 :: v_dual_add_f32 v47, v54, v58
	;; [unrolled: 1-line block ×5, first 2 shown]
	v_sub_f32_e32 v127, v83, v79
	v_add_f32_e32 v79, v86, v90
	v_sub_f32_e32 v90, v90, v86
	v_dual_add_f32 v83, v94, v99 :: v_dual_sub_f32 v94, v99, v94
	v_add_f32_e32 v86, v102, v106
	v_dual_sub_f32 v99, v106, v102 :: v_dual_sub_f32 v106, v115, v111
	v_dual_add_f32 v102, v111, v115 :: v_dual_add_f32 v111, v4, v2
	v_dual_sub_f32 v115, v4, v2 :: v_dual_add_f32 v4, v9, v1
	v_dual_sub_f32 v133, v9, v1 :: v_dual_sub_f32 v134, v18, v14
	v_add_f32_e32 v1, v18, v14
	v_dual_add_f32 v9, v25, v13 :: v_dual_add_f32 v14, v34, v30
	v_sub_f32_e32 v25, v25, v13
	v_dual_sub_f32 v135, v34, v30 :: v_dual_add_f32 v18, v41, v29
	v_dual_sub_f32 v41, v41, v29 :: v_dual_add_f32 v30, v50, v46
	v_sub_f32_e32 v46, v50, v46
	v_add_f32_e32 v34, v57, v45
	v_dual_sub_f32 v45, v57, v45 :: v_dual_add_f32 v50, v66, v62
	v_dual_sub_f32 v57, v66, v62 :: v_dual_add_f32 v136, v89, v77
	v_add_f32_e32 v62, v73, v61
	v_dual_sub_f32 v61, v73, v61 :: v_dual_add_f32 v66, v82, v78
	v_sub_f32_e32 v73, v82, v78
	v_sub_f32_e32 v137, v89, v77
	v_add_f32_e32 v89, v98, v93
	v_dual_sub_f32 v93, v98, v93 :: v_dual_add_f32 v98, v105, v95
	v_dual_sub_f32 v105, v105, v95 :: v_dual_add_f32 v138, v20, v129
	v_dual_add_f32 v95, v114, v109 :: v_dual_sub_f32 v140, v8, v3
	v_dual_sub_f32 v109, v114, v109 :: v_dual_sub_f32 v144, v17, v10
	v_dual_add_f32 v114, v121, v110 :: v_dual_add_f32 v139, v3, v8
	v_add_f32_e32 v74, v54, v65
	v_dual_add_f32 v143, v10, v17 :: v_dual_add_f32 v154, v47, v56
	v_dual_sub_f32 v157, v56, v47 :: v_dual_sub_f32 v78, v65, v54
	v_dual_sub_f32 v17, v85, v79 :: v_dual_sub_f32 v56, v16, v1
	v_dual_add_f32 v13, v83, v97 :: v_dual_add_f32 v54, v1, v16
	v_mbcnt_lo_u32_b32 v1, -1, 0
	v_sub_f32_e32 v110, v121, v110
	v_dual_add_f32 v121, v7, v118 :: v_dual_sub_f32 v142, v12, v5
	v_dual_sub_f32 v129, v129, v20 :: v_dual_add_f32 v150, v38, v49
	v_dual_add_f32 v141, v5, v12 :: v_dual_sub_f32 v80, v72, v63
	v_dual_sub_f32 v147, v33, v15 :: v_dual_add_f32 v20, v79, v85
	v_dual_add_f32 v77, v63, v72 :: v_dual_sub_f32 v2, v113, v102
	v_dual_add_f32 v63, v9, v27 :: v_dual_sub_f32 v162, v59, v34
	v_add_f32_e32 v161, v34, v59
	v_add_f32_e32 v169, v62, v75
	v_dual_sub_f32 v79, v75, v62 :: v_dual_add_f32 v82, v66, v84
	v_dual_add_f32 v5, v114, v123 :: v_dual_sub_f32 v62, v21, v6
	v_add_f32_e32 v59, v21, v6
	v_xor_b32_e32 v21, 1, v1
	s_load_b32 s20, s[0:1], 0x20
	v_dual_add_f32 v145, v15, v33 :: v_dual_add_f32 v148, v26, v40
	v_dual_sub_f32 v149, v40, v26 :: v_dual_sub_f32 v12, v97, v83
	s_delay_alu instid0(VALU_DEP_3) | instskip(SKIP_3) | instid1(VALU_DEP_4)
	v_cmp_gt_i32_e64 s0, 32, v21
	v_add_f32_e32 v33, v70, v81
	v_dual_sub_f32 v29, v81, v70 :: v_dual_sub_f32 v40, v120, v111
	v_dual_add_f32 v3, v102, v113 :: v_dual_sub_f32 v72, v32, v14
	v_cndmask_b32_e64 v21, v1, v21, s0
	v_dual_add_f32 v47, v4, v11 :: v_dual_sub_f32 v102, v43, v18
	v_dual_sub_f32 v65, v27, v9 :: v_dual_sub_f32 v166, v68, v50
	v_dual_add_f32 v97, v18, v43 :: v_dual_sub_f32 v34, v91, v136
	v_dual_sub_f32 v81, v84, v66 :: v_dual_add_f32 v18, v98, v107
	v_dual_sub_f32 v15, v107, v98 :: v_dual_add_f32 v66, v24, v19
	v_dual_add_f32 v27, v128, v122 :: v_dual_add_f32 v98, v37, v31
	v_sub_f32_e32 v107, v37, v31
	v_dual_add_f32 v16, v108, v99 :: v_dual_lshlrev_b32 v37, 2, v21
	v_dual_sub_f32 v153, v49, v38 :: v_dual_add_f32 v8, v86, v104
	v_dual_sub_f32 v49, v11, v4 :: v_dual_sub_f32 v158, v52, v30
	v_dual_add_f32 v83, v136, v91 :: v_dual_sub_f32 v4, v123, v114
	v_sub_f32_e32 v43, v128, v122
	v_add_f32_e32 v75, v28, v22
	v_sub_f32_e32 v91, v28, v22
	v_dual_add_f32 v114, v44, v35 :: v_dual_add_f32 v123, v53, v42
	v_sub_f32_e32 v122, v44, v35
	ds_bpermute_b32 v22, v37, v121
	ds_bpermute_b32 v35, v37, v27
	v_dual_sub_f32 v28, v124, v115 :: v_dual_and_b32 v21, 1, v0
	v_sub_f32_e32 v118, v118, v7
	v_add_f32_e32 v38, v111, v120
	v_dual_add_f32 v111, v30, v52 :: v_dual_sub_f32 v26, v100, v89
	s_delay_alu instid0(VALU_DEP_4)
	v_cmp_eq_u32_e64 s1, 0, v21
	v_dual_add_f32 v165, v50, v68 :: v_dual_sub_f32 v10, v116, v95
	v_dual_add_f32 v11, v95, v116 :: v_dual_sub_f32 v52, v130, v126
	v_add_f32_e32 v50, v130, v126
	v_sub_f32_e32 v68, v24, v19
	v_dual_sub_f32 v126, v53, v42 :: v_dual_add_f32 v173, v76, v67
	v_dual_add_f32 v128, v60, v51 :: v_dual_add_f32 v9, v117, v106
	v_dual_sub_f32 v130, v60, v51 :: v_dual_add_f32 v51, v23, v134
	v_dual_add_f32 v84, v88, v127 :: v_dual_sub_f32 v53, v23, v134
	v_add_f32_e32 v24, v124, v115
	s_wait_alu 0xf1ff
	v_cndmask_b32_e64 v23, -v121, v121, s1
	v_cndmask_b32_e64 v27, -v27, v27, s1
	v_dual_sub_f32 v7, v104, v86 :: v_dual_add_f32 v70, v14, v32
	v_add_f32_e32 v30, v89, v100
	v_dual_add_f32 v136, v69, v58 :: v_dual_sub_f32 v85, v76, v67
	v_dual_sub_f32 v170, v69, v58 :: v_dual_add_f32 v67, v39, v135
	v_sub_f32_e32 v86, v88, v127
	v_dual_add_f32 v32, v101, v94 :: v_dual_sub_f32 v69, v39, v135
	v_dual_sub_f32 v19, v101, v94 :: v_dual_sub_f32 v14, v108, v99
	v_dual_add_f32 v127, v71, v57 :: v_dual_sub_f32 v6, v117, v106
	v_sub_f32_e32 v115, v64, v45
	v_add_f32_e32 v42, v131, v133
	v_sub_f32_e32 v44, v131, v133
	v_add_f32_e32 v58, v36, v25
	v_dual_sub_f32 v60, v36, v25 :: v_dual_add_f32 v39, v125, v110
	v_dual_add_f32 v76, v48, v41 :: v_dual_sub_f32 v21, v125, v110
	s_wait_dscnt 0x0
	v_dual_sub_f32 v88, v48, v41 :: v_dual_add_f32 v101, v27, v35
	v_sub_f32_e32 v99, v55, v46
	v_sub_f32_e32 v133, v71, v57
	ds_bpermute_b32 v25, v37, v38
	ds_bpermute_b32 v36, v37, v24
	;; [unrolled: 1-line block ×3, first 2 shown]
	v_cndmask_b32_e64 v24, -v24, v24, s1
	v_add_f32_e32 v22, v23, v22
	v_cndmask_b32_e64 v23, -v38, v38, s1
	v_add_f32_e32 v89, v92, v90
	v_cndmask_b32_e64 v38, -v118, v118, s1
	v_sub_f32_e32 v31, v92, v90
	v_dual_add_f32 v90, v55, v46 :: v_dual_add_f32 v95, v112, v105
	ds_bpermute_b32 v55, v37, v138
	v_cndmask_b32_e64 v35, -v138, v138, s1
	v_add_f32_e32 v106, v64, v45
	ds_bpermute_b32 v45, v37, v40
	v_cndmask_b32_e64 v40, -v40, v40, s1
	ds_bpermute_b32 v46, v37, v43
	ds_bpermute_b32 v48, v37, v28
	;; [unrolled: 1-line block ×3, first 2 shown]
	v_cndmask_b32_e64 v27, -v43, v43, s1
	s_wait_dscnt 0x7
	v_add_f32_e32 v100, v23, v25
	ds_bpermute_b32 v43, v37, v49
	s_wait_dscnt 0x7
	v_add_f32_e32 v23, v24, v36
	v_cndmask_b32_e64 v28, -v28, v28, s1
	v_cndmask_b32_e64 v36, -v47, v47, s1
	v_sub_f32_e32 v94, v112, v105
	ds_bpermute_b32 v47, v37, v44
	s_wait_dscnt 0x7
	v_add_f32_e32 v24, v38, v41
	ds_bpermute_b32 v41, v37, v129
	v_cndmask_b32_e64 v38, -v50, v50, s1
	v_cndmask_b32_e64 v44, -v44, v44, s1
	v_sub_f32_e32 v92, v119, v109
	ds_bpermute_b32 v64, v37, v145
	ds_bpermute_b32 v71, v37, v158
	s_wait_dscnt 0x8
	v_add_f32_e32 v25, v40, v45
	ds_bpermute_b32 v40, v37, v42
	ds_bpermute_b32 v45, v37, v52
	s_wait_dscnt 0x9
	v_add_f32_e32 v104, v27, v46
	v_cndmask_b32_e64 v46, -v52, v52, s1
	s_wait_dscnt 0x8
	v_add_f32_e32 v105, v28, v48
	s_wait_dscnt 0x7
	v_add_f32_e32 v28, v36, v57
	v_cndmask_b32_e64 v36, -v42, v42, s1
	v_cndmask_b32_e64 v42, -v49, v49, s1
	v_add_f32_e32 v135, v87, v73
	v_sub_f32_e32 v87, v87, v73
	v_add_f32_e32 v27, v35, v55
	ds_bpermute_b32 v55, v37, v140
	ds_bpermute_b32 v49, v37, v54
	;; [unrolled: 1-line block ×7, first 2 shown]
	s_wait_storecnt_dscnt 0x0
	s_barrier_signal -1
	v_add_f32_e32 v108, v36, v40
	v_add_f32_e32 v36, v42, v43
	v_cndmask_b32_e64 v43, -v59, v59, s1
	v_add_f32_e32 v134, v132, v61
	v_sub_f32_e32 v132, v132, v61
	ds_bpermute_b32 v61, v37, v50
	ds_bpermute_b32 v50, v37, v59
	v_add_f32_e32 v40, v44, v47
	v_cndmask_b32_e64 v42, -v54, v54, s1
	v_cndmask_b32_e64 v44, -v51, v51, s1
	ds_bpermute_b32 v47, v37, v62
	v_add_f32_e32 v174, v96, v137
	ds_bpermute_b32 v51, v37, v53
	ds_bpermute_b32 v54, v37, v141
	v_dual_add_f32 v113, v42, v49 :: v_dual_add_f32 v42, v44, v52
	v_cndmask_b32_e64 v44, -v56, v56, s1
	v_cndmask_b32_e64 v49, -v141, v141, s1
	v_sub_f32_e32 v96, v96, v137
	v_add_f32_e32 v137, v103, v93
	v_sub_f32_e32 v103, v103, v93
	v_add_f32_e32 v93, v119, v109
	ds_bpermute_b32 v52, v37, v66
	ds_bpermute_b32 v59, v37, v68
	s_barrier_wait -1
	s_wait_dscnt 0x6
	v_add_f32_e32 v35, v38, v61
	v_cndmask_b32_e64 v38, -v129, v129, s1
	ds_bpermute_b32 v61, v37, v75
	s_wait_dscnt 0x0
	global_inv scope:SCOPE_SE
	v_add_f32_e32 v109, v38, v41
	v_add_f32_e32 v38, v46, v45
	v_cndmask_b32_e64 v41, -v139, v139, s1
	v_cndmask_b32_e64 v45, -v140, v140, s1
	ds_bpermute_b32 v46, v37, v56
	ds_bpermute_b32 v56, v37, v65
	v_dual_add_f32 v112, v41, v48 :: v_dual_add_f32 v41, v43, v50
	v_add_f32_e32 v43, v45, v55
	v_cndmask_b32_e64 v48, -v53, v53, s1
	ds_bpermute_b32 v53, v37, v58
	ds_bpermute_b32 v55, v37, v142
	v_cndmask_b32_e64 v45, -v62, v62, s1
	v_cndmask_b32_e64 v50, -v63, v63, s1
	ds_bpermute_b32 v62, v37, v67
	ds_bpermute_b32 v63, v37, v69
	;; [unrolled: 1-line block ×3, first 2 shown]
	v_add_f32_e32 v117, v45, v47
	v_add_f32_e32 v45, v49, v54
	v_cndmask_b32_e64 v47, -v66, v66, s1
	v_cndmask_b32_e64 v49, -v142, v142, s1
	ds_bpermute_b32 v54, v37, v60
	ds_bpermute_b32 v66, v37, v147
	s_wait_dscnt 0x8
	v_add_f32_e32 v116, v44, v46
	v_add_f32_e32 v44, v48, v51
	;; [unrolled: 1-line block ×3, first 2 shown]
	v_cndmask_b32_e64 v48, -v58, v58, s1
	v_cndmask_b32_e64 v50, -v65, v65, s1
	;; [unrolled: 1-line block ×3, first 2 shown]
	ds_bpermute_b32 v57, v37, v143
	ds_bpermute_b32 v58, v37, v70
	s_wait_dscnt 0x8
	v_dual_add_f32 v120, v47, v52 :: v_dual_add_f32 v121, v48, v53
	s_wait_dscnt 0x7
	v_dual_add_f32 v48, v50, v56 :: v_dual_add_f32 v47, v49, v55
	v_add_f32_e32 v49, v51, v59
	v_cndmask_b32_e64 v50, -v60, v60, s1
	ds_bpermute_b32 v56, v37, v144
	ds_bpermute_b32 v59, v37, v72
	;; [unrolled: 1-line block ×3, first 2 shown]
	v_cndmask_b32_e64 v51, -v143, v143, s1
	v_cndmask_b32_e64 v52, -v70, v70, s1
	;; [unrolled: 1-line block ×4, first 2 shown]
	s_wait_dscnt 0x6
	v_add_f32_e32 v124, v50, v54
	v_cndmask_b32_e64 v54, -v72, v72, s1
	ds_bpermute_b32 v65, v37, v76
	ds_bpermute_b32 v67, v37, v102
	;; [unrolled: 1-line block ×3, first 2 shown]
	s_wait_dscnt 0x6
	v_dual_add_f32 v125, v51, v57 :: v_dual_add_f32 v50, v52, v58
	v_dual_add_f32 v51, v53, v61 :: v_dual_add_f32 v52, v55, v62
	v_cndmask_b32_e64 v53, -v144, v144, s1
	v_cndmask_b32_e64 v55, -v91, v91, s1
	;; [unrolled: 1-line block ×3, first 2 shown]
	ds_bpermute_b32 v62, v37, v98
	ds_bpermute_b32 v61, v37, v97
	s_wait_dscnt 0x7
	v_add_f32_e32 v129, v53, v56
	s_wait_dscnt 0x6
	v_add_f32_e32 v131, v54, v59
	s_wait_dscnt 0x5
	v_dual_add_f32 v53, v55, v60 :: v_dual_add_f32 v54, v57, v63
	ds_bpermute_b32 v63, v37, v107
	v_cndmask_b32_e64 v58, -v145, v145, s1
	v_cndmask_b32_e64 v57, -v98, v98, s1
	;; [unrolled: 1-line block ×5, first 2 shown]
	v_add_f32_e32 v55, v58, v64
	v_cndmask_b32_e64 v58, -v76, v76, s1
	ds_bpermute_b32 v64, v37, v88
	ds_bpermute_b32 v69, v37, v111
	;; [unrolled: 1-line block ×6, first 2 shown]
	s_wait_dscnt 0x8
	v_add_f32_e32 v152, v57, v62
	v_add_f32_e32 v57, v59, v66
	v_cndmask_b32_e64 v59, -v107, v107, s1
	ds_bpermute_b32 v66, v37, v90
	v_cndmask_b32_e64 v62, -v111, v111, s1
	ds_bpermute_b32 v91, v37, v154
	ds_bpermute_b32 v97, v37, v165
	s_wait_dscnt 0x9
	v_add_f32_e32 v155, v59, v63
	v_cndmask_b32_e64 v63, -v149, v149, s1
	v_add_f32_e32 v151, v56, v61
	v_cndmask_b32_e64 v61, -v148, v148, s1
	v_add_f32_e32 v56, v58, v65
	v_add_f32_e32 v58, v60, v67
	ds_bpermute_b32 v67, v37, v149
	v_cndmask_b32_e64 v60, -v88, v88, s1
	v_cndmask_b32_e64 v65, -v114, v114, s1
	v_add_f32_e32 v59, v61, v68
	v_cndmask_b32_e64 v68, -v99, v99, s1
	ds_bpermute_b32 v88, v37, v153
	s_wait_dscnt 0xa
	v_add_f32_e32 v156, v60, v64
	s_wait_dscnt 0x8
	v_dual_add_f32 v60, v62, v69 :: v_dual_add_f32 v61, v65, v70
	v_cndmask_b32_e64 v62, -v90, v90, s1
	v_cndmask_b32_e64 v64, -v158, v158, s1
	;; [unrolled: 1-line block ×3, first 2 shown]
	ds_bpermute_b32 v69, v37, v150
	ds_bpermute_b32 v70, v37, v161
	s_wait_dscnt 0x6
	v_dual_add_f32 v159, v62, v66 :: v_dual_add_f32 v62, v64, v71
	v_add_f32_e32 v64, v68, v73
	ds_bpermute_b32 v73, v37, v126
	ds_bpermute_b32 v90, v37, v115
	v_cndmask_b32_e64 v66, -v161, v161, s1
	s_wait_dscnt 0x5
	v_dual_add_f32 v160, v63, v67 :: v_dual_add_f32 v63, v65, v72
	ds_bpermute_b32 v72, v37, v162
	v_cndmask_b32_e64 v65, -v150, v150, s1
	v_cndmask_b32_e64 v67, -v123, v123, s1
	;; [unrolled: 1-line block ×4, first 2 shown]
	ds_bpermute_b32 v98, v37, v157
	ds_bpermute_b32 v99, v37, v166
	;; [unrolled: 1-line block ×5, first 2 shown]
	s_wait_dscnt 0x8
	v_dual_add_f32 v163, v65, v69 :: v_dual_add_f32 v164, v66, v70
	v_dual_add_f32 v65, v67, v75 :: v_dual_add_f32 v66, v68, v76
	v_cndmask_b32_e64 v68, -v162, v162, s1
	v_cndmask_b32_e64 v69, -v126, v126, s1
	v_add_f32_e32 v67, v71, v88
	v_cndmask_b32_e64 v70, -v115, v115, s1
	v_cndmask_b32_e64 v71, -v154, v154, s1
	;; [unrolled: 1-line block ×3, first 2 shown]
	ds_bpermute_b32 v76, v37, v128
	ds_bpermute_b32 v88, v37, v127
	s_wait_dscnt 0x7
	v_dual_add_f32 v167, v68, v72 :: v_dual_add_f32 v68, v70, v90
	v_add_f32_e32 v168, v69, v73
	v_cndmask_b32_e64 v72, -v127, v127, s1
	v_add_f32_e32 v69, v71, v91
	v_cndmask_b32_e64 v73, -v157, v157, s1
	v_add_f32_e32 v70, v75, v97
	ds_bpermute_b32 v91, v37, v133
	ds_bpermute_b32 v97, v37, v74
	v_cndmask_b32_e64 v71, -v128, v128, s1
	v_cndmask_b32_e64 v75, -v166, v166, s1
	;; [unrolled: 1-line block ×4, first 2 shown]
	ds_bpermute_b32 v111, v37, v132
	ds_bpermute_b32 v114, v37, v77
	;; [unrolled: 1-line block ×3, first 2 shown]
	s_wait_dscnt 0x6
	v_add_f32_e32 v171, v71, v76
	s_wait_dscnt 0x5
	v_dual_add_f32 v172, v72, v88 :: v_dual_add_f32 v71, v73, v98
	v_dual_add_f32 v72, v75, v99 :: v_dual_add_f32 v73, v90, v102
	v_cndmask_b32_e64 v75, -v133, v133, s1
	v_cndmask_b32_e64 v76, -v169, v169, s1
	;; [unrolled: 1-line block ×4, first 2 shown]
	ds_bpermute_b32 v98, v37, v78
	ds_bpermute_b32 v99, v37, v79
	;; [unrolled: 1-line block ×3, first 2 shown]
	s_wait_dscnt 0x6
	v_dual_add_f32 v175, v75, v91 :: v_dual_add_f32 v176, v74, v97
	v_add_f32_e32 v74, v76, v106
	v_dual_add_f32 v75, v88, v107 :: v_dual_add_f32 v76, v90, v110
	ds_bpermute_b32 v97, v37, v82
	ds_bpermute_b32 v106, v37, v173
	;; [unrolled: 1-line block ×4, first 2 shown]
	v_cndmask_b32_e64 v78, -v78, v78, s1
	v_cndmask_b32_e64 v79, -v79, v79, s1
	;; [unrolled: 1-line block ×6, first 2 shown]
	s_wait_dscnt 0x5
	v_dual_add_f32 v179, v78, v98 :: v_dual_add_f32 v180, v79, v99
	s_wait_dscnt 0x4
	v_dual_add_f32 v77, v88, v102 :: v_dual_add_f32 v78, v90, v111
	v_cndmask_b32_e64 v88, -v173, v173, s1
	v_cndmask_b32_e64 v90, -v135, v135, s1
	v_add_f32_e32 v79, v91, v114
	v_cndmask_b32_e64 v91, -v80, v80, s1
	v_cndmask_b32_e64 v98, -v81, v81, s1
	ds_bpermute_b32 v99, v37, v85
	ds_bpermute_b32 v102, v37, v87
	;; [unrolled: 1-line block ×4, first 2 shown]
	s_wait_dscnt 0x6
	v_dual_add_f32 v183, v82, v97 :: v_dual_add_f32 v184, v88, v106
	s_wait_dscnt 0x4
	v_dual_add_f32 v80, v90, v107 :: v_dual_add_f32 v81, v91, v110
	v_add_f32_e32 v82, v98, v115
	ds_bpermute_b32 v91, v37, v174
	ds_bpermute_b32 v97, v37, v29
	;; [unrolled: 1-line block ×5, first 2 shown]
	v_cndmask_b32_e64 v85, -v85, v85, s1
	v_cndmask_b32_e64 v87, -v87, v87, s1
	;; [unrolled: 1-line block ×6, first 2 shown]
	s_wait_dscnt 0x7
	v_dual_add_f32 v187, v85, v99 :: v_dual_add_f32 v188, v87, v102
	s_wait_dscnt 0x5
	v_dual_add_f32 v83, v33, v111 :: v_dual_add_f32 v84, v88, v114
	v_add_f32_e32 v85, v90, v118
	v_cndmask_b32_e64 v33, -v174, v174, s1
	v_cndmask_b32_e64 v34, -v34, v34, s1
	;; [unrolled: 1-line block ×4, first 2 shown]
	ds_bpermute_b32 v90, v37, v20
	ds_bpermute_b32 v99, v37, v89
	;; [unrolled: 1-line block ×5, first 2 shown]
	s_wait_dscnt 0x7
	v_dual_add_f32 v191, v33, v91 :: v_dual_add_f32 v86, v34, v98
	s_wait_dscnt 0x6
	v_dual_add_f32 v192, v29, v97 :: v_dual_add_f32 v87, v87, v106
	s_wait_dscnt 0x5
	v_add_f32_e32 v88, v88, v107
	ds_bpermute_b32 v97, v37, v31
	ds_bpermute_b32 v98, v37, v103
	;; [unrolled: 1-line block ×4, first 2 shown]
	v_cndmask_b32_e64 v20, -v20, v20, s1
	v_cndmask_b32_e64 v29, -v30, v30, s1
	;; [unrolled: 1-line block ×5, first 2 shown]
	ds_bpermute_b32 v34, v37, v26
	s_wait_dscnt 0x9
	v_add_f32_e32 v195, v20, v90
	s_wait_dscnt 0x8
	v_add_f32_e32 v89, v30, v99
	v_cndmask_b32_e64 v20, -v31, v31, s1
	ds_bpermute_b32 v99, v37, v12
	v_cndmask_b32_e64 v13, -v13, v13, s1
	v_cndmask_b32_e64 v18, -v18, v18, s1
	;; [unrolled: 1-line block ×3, first 2 shown]
	s_wait_dscnt 0x8
	v_add_f32_e32 v91, v17, v110
	v_cndmask_b32_e64 v17, -v26, v26, s1
	v_cndmask_b32_e64 v26, -v103, v103, s1
	s_wait_dscnt 0x7
	v_add_f32_e32 v196, v29, v96
	s_wait_dscnt 0x6
	v_add_f32_e32 v90, v33, v102
	ds_bpermute_b32 v33, v37, v32
	s_wait_dscnt 0x4
	v_dual_add_f32 v147, v20, v97 :: v_dual_add_f32 v30, v13, v106
	v_cndmask_b32_e64 v13, -v32, v32, s1
	v_add_f32_e32 v29, v26, v98
	ds_bpermute_b32 v26, v37, v8
	v_cndmask_b32_e64 v8, -v8, v8, s1
	s_wait_dscnt 0x4
	v_add_f32_e32 v31, v18, v107
	ds_bpermute_b32 v18, v37, v19
	ds_bpermute_b32 v96, v37, v95
	;; [unrolled: 1-line block ×4, first 2 shown]
	s_wait_dscnt 0x6
	v_add_f32_e32 v32, v12, v99
	v_cndmask_b32_e64 v12, -v19, v19, s1
	ds_bpermute_b32 v19, v37, v10
	v_cndmask_b32_e64 v10, -v10, v10, s1
	v_cndmask_b32_e64 v15, -v15, v15, s1
	ds_bpermute_b32 v20, v37, v94
	ds_bpermute_b32 v98, v37, v14
	;; [unrolled: 1-line block ×3, first 2 shown]
	s_wait_dscnt 0x9
	v_add_f32_e32 v148, v13, v33
	v_cndmask_b32_e64 v13, -v94, v94, s1
	v_cndmask_b32_e64 v14, -v14, v14, s1
	s_wait_dscnt 0x7
	v_add_f32_e32 v207, v12, v18
	v_cndmask_b32_e64 v12, -v16, v16, s1
	v_add_f32_e32 v133, v17, v34
	ds_bpermute_b32 v34, v37, v11
	v_cndmask_b32_e64 v17, -v95, v95, s1
	v_cndmask_b32_e64 v11, -v11, v11, s1
	;; [unrolled: 1-line block ×3, first 2 shown]
	s_wait_dscnt 0x4
	v_add_f32_e32 v94, v10, v19
	ds_bpermute_b32 v10, v37, v9
	v_add_f32_e32 v203, v17, v96
	ds_bpermute_b32 v17, v37, v7
	v_add_f32_e32 v96, v8, v26
	v_add_f32_e32 v8, v12, v97
	v_cndmask_b32_e64 v12, -v93, v93, s1
	v_add_f32_e32 v33, v15, v102
	ds_bpermute_b32 v15, v37, v93
	v_cndmask_b32_e64 v7, -v7, v7, s1
	s_wait_dscnt 0x5
	v_dual_add_f32 v95, v13, v20 :: v_dual_add_f32 v26, v14, v98
	ds_bpermute_b32 v13, v37, v5
	ds_bpermute_b32 v14, v37, v2
	v_cndmask_b32_e64 v5, -v5, v5, s1
	s_wait_dscnt 0x6
	v_add_f32_e32 v210, v16, v99
	s_wait_dscnt 0x5
	v_add_f32_e32 v34, v11, v34
	ds_bpermute_b32 v11, v37, v3
	v_cndmask_b32_e64 v3, -v3, v3, s1
	v_cndmask_b32_e64 v2, -v2, v2, s1
	s_wait_dscnt 0x4
	v_dual_add_f32 v93, v7, v17 :: v_dual_and_b32 v16, 2, v0
	v_xor_b32_e32 v7, 2, v1
	s_delay_alu instid0(VALU_DEP_2)
	v_cmp_eq_u32_e64 s17, 0, v16
	s_wait_dscnt 0x3
	v_add_f32_e32 v92, v12, v15
	ds_bpermute_b32 v12, v37, v39
	ds_bpermute_b32 v15, v37, v4
	v_cmp_gt_i32_e64 s0, 32, v7
	s_wait_dscnt 0x2
	v_add_f32_e32 v97, v3, v11
	s_wait_alu 0xf1ff
	s_delay_alu instid0(VALU_DEP_2)
	v_cndmask_b32_e64 v3, v1, v7, s0
	v_cndmask_b32_e64 v7, -v9, v9, s1
	v_cndmask_b32_e64 v9, -v39, v39, s1
	v_add_f32_e32 v5, v5, v13
	ds_bpermute_b32 v11, v37, v6
	v_lshlrev_b32_e32 v39, 2, v3
	v_cndmask_b32_e64 v3, -v4, v4, s1
	ds_bpermute_b32 v13, v37, v21
	v_add_f32_e32 v99, v2, v14
	v_add_f32_e32 v4, v7, v10
	v_cndmask_b32_e64 v7, -v22, v22, s17
	s_wait_dscnt 0x3
	v_add_f32_e32 v98, v9, v12
	ds_bpermute_b32 v17, v39, v22
	ds_bpermute_b32 v18, v39, v100
	;; [unrolled: 1-line block ×3, first 2 shown]
	s_wait_dscnt 0x5
	v_add_f32_e32 v2, v3, v15
	ds_bpermute_b32 v14, v39, v24
	ds_bpermute_b32 v15, v39, v25
	;; [unrolled: 1-line block ×4, first 2 shown]
	v_cndmask_b32_e64 v3, -v6, v6, s1
	v_cndmask_b32_e64 v6, -v21, v21, s1
	;; [unrolled: 1-line block ×4, first 2 shown]
	ds_bpermute_b32 v12, v39, v23
	s_wait_dscnt 0x9
	v_add_f32_e32 v100, v3, v11
	v_cndmask_b32_e64 v11, -v105, v105, s17
	s_wait_dscnt 0x8
	v_add_f32_e32 v101, v6, v13
	ds_bpermute_b32 v13, v39, v27
	ds_bpermute_b32 v21, v39, v109
	;; [unrolled: 1-line block ×3, first 2 shown]
	v_cndmask_b32_e64 v3, -v23, v23, s17
	s_wait_dscnt 0x9
	v_dual_add_f32 v102, v7, v17 :: v_dual_add_f32 v103, v9, v18
	v_cndmask_b32_e64 v7, -v24, v24, s17
	s_wait_dscnt 0x8
	v_add_f32_e32 v6, v10, v19
	v_cndmask_b32_e64 v9, -v25, v25, s17
	v_cndmask_b32_e64 v10, -v104, v104, s17
	ds_bpermute_b32 v17, v39, v28
	ds_bpermute_b32 v18, v39, v35
	;; [unrolled: 1-line block ×3, first 2 shown]
	s_wait_dscnt 0x9
	v_dual_add_f32 v105, v7, v14 :: v_dual_add_f32 v106, v9, v15
	s_wait_dscnt 0x8
	v_add_f32_e32 v107, v10, v16
	v_cndmask_b32_e64 v10, -v35, v35, s17
	s_wait_dscnt 0x7
	v_add_f32_e32 v7, v11, v20
	ds_bpermute_b32 v14, v39, v36
	ds_bpermute_b32 v15, v39, v38
	;; [unrolled: 1-line block ×4, first 2 shown]
	v_cndmask_b32_e64 v9, -v28, v28, s17
	s_wait_dscnt 0xa
	v_add_f32_e32 v104, v3, v12
	v_cndmask_b32_e64 v3, -v27, v27, s17
	v_cndmask_b32_e64 v11, -v108, v108, s17
	v_cndmask_b32_e64 v12, -v109, v109, s17
	ds_bpermute_b32 v23, v39, v117
	ds_bpermute_b32 v24, v39, v121
	;; [unrolled: 1-line block ×3, first 2 shown]
	s_wait_dscnt 0x8
	v_dual_add_f32 v109, v9, v17 :: v_dual_add_f32 v110, v10, v18
	v_cndmask_b32_e64 v10, -v38, v38, s17
	v_add_f32_e32 v108, v3, v13
	v_cndmask_b32_e64 v3, -v36, v36, s17
	v_add_f32_e32 v9, v12, v21
	v_cndmask_b32_e64 v12, -v112, v112, s17
	v_cndmask_b32_e64 v13, -v113, v113, s17
	s_wait_dscnt 0x7
	v_add_f32_e32 v111, v11, v19
	v_cndmask_b32_e64 v11, -v40, v40, s17
	ds_bpermute_b32 v17, v39, v41
	ds_bpermute_b32 v18, v39, v42
	;; [unrolled: 1-line block ×4, first 2 shown]
	s_wait_dscnt 0x9
	v_dual_add_f32 v112, v3, v14 :: v_dual_add_f32 v113, v10, v15
	v_add_f32_e32 v10, v13, v22
	v_cndmask_b32_e64 v3, -v41, v41, s17
	s_wait_dscnt 0x7
	v_add_f32_e32 v115, v12, v20
	v_cndmask_b32_e64 v13, -v116, v116, s17
	v_add_f32_e32 v114, v11, v16
	ds_bpermute_b32 v15, v39, v44
	ds_bpermute_b32 v16, v39, v45
	;; [unrolled: 1-line block ×4, first 2 shown]
	v_cndmask_b32_e64 v11, -v42, v42, s17
	v_cndmask_b32_e64 v12, -v43, v43, s17
	;; [unrolled: 1-line block ×3, first 2 shown]
	ds_bpermute_b32 v27, v39, v131
	ds_bpermute_b32 v28, v39, v152
	s_wait_dscnt 0x9
	v_add_f32_e32 v116, v3, v17
	s_wait_dscnt 0x7
	v_dual_add_f32 v117, v11, v18 :: v_dual_add_f32 v118, v12, v19
	s_wait_dscnt 0x6
	v_add_f32_e32 v119, v13, v21
	v_cndmask_b32_e64 v3, -v44, v44, s17
	v_cndmask_b32_e64 v12, -v45, v45, s17
	;; [unrolled: 1-line block ×3, first 2 shown]
	v_add_f32_e32 v11, v14, v23
	v_cndmask_b32_e64 v14, -v120, v120, s17
	v_cndmask_b32_e64 v17, -v121, v121, s17
	ds_bpermute_b32 v18, v39, v47
	ds_bpermute_b32 v19, v39, v48
	;; [unrolled: 1-line block ×4, first 2 shown]
	s_wait_dscnt 0x8
	v_dual_add_f32 v120, v3, v15 :: v_dual_add_f32 v121, v12, v16
	s_wait_dscnt 0x6
	v_dual_add_f32 v122, v13, v20 :: v_dual_add_f32 v123, v14, v22
	v_add_f32_e32 v12, v17, v24
	ds_bpermute_b32 v17, v39, v50
	ds_bpermute_b32 v20, v39, v51
	;; [unrolled: 1-line block ×3, first 2 shown]
	v_cndmask_b32_e64 v3, -v47, v47, s17
	v_cndmask_b32_e64 v13, -v48, v48, s17
	;; [unrolled: 1-line block ×4, first 2 shown]
	ds_bpermute_b32 v24, v39, v129
	v_cndmask_b32_e64 v16, -v125, v125, s17
	ds_bpermute_b32 v35, v39, v156
	ds_bpermute_b32 v36, v39, v160
	s_wait_dscnt 0x8
	v_dual_add_f32 v124, v3, v18 :: v_dual_add_f32 v125, v13, v19
	s_wait_dscnt 0x6
	v_dual_add_f32 v126, v14, v21 :: v_dual_add_f32 v127, v15, v23
	v_cndmask_b32_e64 v3, -v50, v50, s17
	v_cndmask_b32_e64 v14, -v51, v51, s17
	;; [unrolled: 1-line block ×4, first 2 shown]
	ds_bpermute_b32 v19, v39, v53
	ds_bpermute_b32 v21, v39, v54
	;; [unrolled: 1-line block ×3, first 2 shown]
	v_add_f32_e32 v13, v16, v25
	v_cndmask_b32_e64 v16, -v129, v129, s17
	ds_bpermute_b32 v25, v39, v151
	s_wait_dscnt 0x9
	v_add_f32_e32 v129, v3, v17
	v_cndmask_b32_e64 v17, -v151, v151, s17
	s_wait_dscnt 0x7
	v_add_f32_e32 v149, v15, v22
	v_cndmask_b32_e64 v15, -v54, v54, s17
	v_add_f32_e32 v131, v14, v20
	v_add_f32_e32 v14, v18, v27
	ds_bpermute_b32 v20, v39, v56
	ds_bpermute_b32 v27, v39, v155
	s_wait_dscnt 0x8
	v_add_f32_e32 v150, v16, v24
	v_cndmask_b32_e64 v3, -v53, v53, s17
	v_cndmask_b32_e64 v16, -v55, v55, s17
	;; [unrolled: 1-line block ×3, first 2 shown]
	ds_bpermute_b32 v22, v39, v57
	ds_bpermute_b32 v24, v39, v58
	ds_bpermute_b32 v38, v39, v164
	s_wait_dscnt 0x7
	v_dual_add_f32 v152, v15, v21 :: v_dual_add_f32 v15, v18, v28
	v_cndmask_b32_e64 v18, -v155, v155, s17
	ds_bpermute_b32 v28, v39, v159
	s_wait_dscnt 0x7
	v_add_f32_e32 v153, v16, v23
	v_cndmask_b32_e64 v16, -v57, v57, s17
	v_add_f32_e32 v151, v3, v19
	v_cndmask_b32_e64 v3, -v56, v56, s17
	s_wait_dscnt 0x6
	v_add_f32_e32 v154, v17, v25
	ds_bpermute_b32 v21, v39, v59
	ds_bpermute_b32 v23, v39, v60
	;; [unrolled: 1-line block ×3, first 2 shown]
	s_wait_dscnt 0x7
	v_dual_add_f32 v155, v3, v20 :: v_dual_add_f32 v158, v18, v27
	ds_bpermute_b32 v27, v39, v64
	v_cndmask_b32_e64 v19, -v156, v156, s17
	v_cndmask_b32_e64 v17, -v58, v58, s17
	s_wait_dscnt 0x7
	v_add_f32_e32 v156, v16, v22
	v_cndmask_b32_e64 v3, -v59, v59, s17
	v_cndmask_b32_e64 v18, -v61, v61, s17
	v_add_f32_e32 v16, v19, v35
	v_cndmask_b32_e64 v19, -v159, v159, s17
	v_cndmask_b32_e64 v20, -v160, v160, s17
	ds_bpermute_b32 v22, v39, v62
	ds_bpermute_b32 v35, v39, v163
	s_wait_dscnt 0x8
	v_add_f32_e32 v157, v17, v24
	v_cndmask_b32_e64 v17, -v60, v60, s17
	ds_bpermute_b32 v24, v39, v63
	s_wait_dscnt 0x7
	v_add_f32_e32 v162, v19, v28
	v_cndmask_b32_e64 v19, -v64, v64, s17
	s_wait_dscnt 0x5
	v_dual_add_f32 v159, v3, v21 :: v_dual_add_f32 v160, v17, v23
	v_cndmask_b32_e64 v21, -v164, v164, s17
	s_wait_dscnt 0x4
	v_add_f32_e32 v161, v18, v25
	ds_bpermute_b32 v25, v39, v66
	s_wait_dscnt 0x4
	v_add_f32_e32 v165, v19, v27
	v_cndmask_b32_e64 v19, -v66, v66, s17
	v_add_f32_e32 v17, v20, v36
	ds_bpermute_b32 v36, v39, v167
	ds_bpermute_b32 v23, v39, v65
	;; [unrolled: 1-line block ×4, first 2 shown]
	v_cndmask_b32_e64 v3, -v62, v62, s17
	v_cndmask_b32_e64 v18, -v63, v63, s17
	;; [unrolled: 1-line block ×3, first 2 shown]
	ds_bpermute_b32 v27, v39, v69
	ds_bpermute_b32 v41, v39, v172
	s_wait_dscnt 0x7
	v_dual_add_f32 v163, v3, v22 :: v_dual_add_f32 v164, v18, v24
	v_add_f32_e32 v18, v21, v38
	v_cndmask_b32_e64 v21, -v167, v167, s17
	ds_bpermute_b32 v38, v39, v171
	v_add_f32_e32 v166, v20, v35
	v_cndmask_b32_e64 v3, -v65, v65, s17
	v_cndmask_b32_e64 v20, -v67, v67, s17
	;; [unrolled: 1-line block ×3, first 2 shown]
	ds_bpermute_b32 v24, v39, v68
	ds_bpermute_b32 v35, v39, v70
	s_wait_dscnt 0x8
	v_add_f32_e32 v170, v21, v36
	ds_bpermute_b32 v36, v39, v73
	s_wait_dscnt 0x6
	v_dual_add_f32 v168, v19, v25 :: v_dual_add_f32 v19, v22, v40
	v_cndmask_b32_e64 v22, -v171, v171, s17
	v_add_f32_e32 v167, v3, v23
	v_cndmask_b32_e64 v23, -v172, v172, s17
	v_add_f32_e32 v169, v20, v28
	ds_bpermute_b32 v25, v39, v71
	ds_bpermute_b32 v28, v39, v72
	;; [unrolled: 1-line block ×4, first 2 shown]
	v_cndmask_b32_e64 v3, -v68, v68, s17
	v_cndmask_b32_e64 v20, -v69, v69, s17
	;; [unrolled: 1-line block ×3, first 2 shown]
	s_wait_dscnt 0x7
	v_add_f32_e32 v174, v22, v38
	v_cndmask_b32_e64 v22, -v73, v73, s17
	ds_bpermute_b32 v43, v39, v180
	v_add_f32_e32 v172, v20, v27
	v_add_f32_e32 v20, v23, v41
	v_cndmask_b32_e64 v23, -v175, v175, s17
	s_wait_dscnt 0x6
	v_add_f32_e32 v173, v21, v35
	v_cndmask_b32_e64 v21, -v72, v72, s17
	ds_bpermute_b32 v27, v39, v74
	ds_bpermute_b32 v35, v39, v75
	ds_bpermute_b32 v41, v39, v179
	s_wait_dscnt 0x8
	v_add_f32_e32 v177, v22, v36
	v_cndmask_b32_e64 v22, -v75, v75, s17
	v_add_f32_e32 v171, v3, v24
	v_cndmask_b32_e64 v3, -v71, v71, s17
	v_cndmask_b32_e64 v24, -v176, v176, s17
	ds_bpermute_b32 v38, v39, v76
	s_wait_dscnt 0x7
	v_add_f32_e32 v176, v21, v28
	s_wait_dscnt 0x6
	v_add_f32_e32 v178, v23, v40
	v_add_f32_e32 v175, v3, v25
	ds_bpermute_b32 v28, v39, v77
	ds_bpermute_b32 v40, v39, v79
	v_cndmask_b32_e64 v25, -v180, v180, s17
	s_wait_dscnt 0x7
	v_add_f32_e32 v21, v24, v42
	ds_bpermute_b32 v42, v39, v183
	v_cndmask_b32_e64 v3, -v74, v74, s17
	v_cndmask_b32_e64 v24, -v179, v179, s17
	ds_bpermute_b32 v36, v39, v78
	ds_bpermute_b32 v44, v39, v184
	v_cndmask_b32_e64 v23, -v76, v76, s17
	s_wait_dscnt 0x7
	v_add_f32_e32 v180, v22, v35
	s_wait_dscnt 0x6
	v_add_f32_e32 v182, v24, v41
	v_add_f32_e32 v22, v25, v43
	v_cndmask_b32_e64 v24, -v79, v79, s17
	v_cndmask_b32_e64 v25, -v183, v183, s17
	v_add_f32_e32 v179, v3, v27
	v_cndmask_b32_e64 v3, -v77, v77, s17
	ds_bpermute_b32 v41, v39, v82
	ds_bpermute_b32 v43, v39, v187
	;; [unrolled: 1-line block ×3, first 2 shown]
	v_cndmask_b32_e64 v27, -v184, v184, s17
	s_wait_dscnt 0x6
	v_add_f32_e32 v185, v24, v40
	v_cndmask_b32_e64 v24, -v81, v81, s17
	v_add_f32_e32 v183, v3, v28
	v_cndmask_b32_e64 v28, -v188, v188, s17
	v_add_f32_e32 v181, v23, v38
	ds_bpermute_b32 v38, v39, v81
	v_cndmask_b32_e64 v23, -v78, v78, s17
	s_wait_dscnt 0x6
	v_add_f32_e32 v186, v25, v42
	ds_bpermute_b32 v42, v39, v85
	ds_bpermute_b32 v35, v39, v80
	v_cndmask_b32_e64 v25, -v82, v82, s17
	s_wait_dscnt 0x7
	v_add_f32_e32 v184, v23, v36
	s_wait_dscnt 0x6
	v_add_f32_e32 v23, v27, v44
	v_cndmask_b32_e64 v27, -v187, v187, s17
	ds_bpermute_b32 v40, v39, v84
	ds_bpermute_b32 v44, v39, v191
	ds_bpermute_b32 v36, v39, v83
	ds_bpermute_b32 v46, v39, v192
	s_wait_dscnt 0x8
	v_dual_add_f32 v189, v25, v41 :: v_dual_add_f32 v190, v27, v43
	ds_bpermute_b32 v41, v39, v87
	ds_bpermute_b32 v43, v39, v88
	v_cndmask_b32_e64 v27, -v85, v85, s17
	v_cndmask_b32_e64 v3, -v80, v80, s17
	;; [unrolled: 1-line block ×3, first 2 shown]
	s_wait_dscnt 0x8
	v_add_f32_e32 v188, v24, v38
	v_add_f32_e32 v24, v28, v45
	ds_bpermute_b32 v38, v39, v86
	ds_bpermute_b32 v45, v39, v195
	v_cndmask_b32_e64 v28, -v191, v191, s17
	s_wait_dscnt 0x9
	v_add_f32_e32 v193, v27, v42
	ds_bpermute_b32 v42, v39, v90
	ds_bpermute_b32 v48, v39, v147
	s_wait_dscnt 0xa
	v_add_f32_e32 v187, v3, v35
	v_cndmask_b32_e64 v3, -v83, v83, s17
	v_cndmask_b32_e64 v35, -v192, v192, s17
	ds_bpermute_b32 v47, v39, v196
	s_wait_dscnt 0xa
	v_add_f32_e32 v192, v25, v40
	s_wait_dscnt 0x9
	v_add_f32_e32 v194, v28, v44
	v_cndmask_b32_e64 v27, -v87, v87, s17
	v_cndmask_b32_e64 v28, -v88, v88, s17
	ds_bpermute_b32 v40, v39, v89
	s_wait_dscnt 0x8
	v_add_f32_e32 v25, v35, v46
	v_cndmask_b32_e64 v35, -v195, v195, s17
	ds_bpermute_b32 v44, v39, v91
	ds_bpermute_b32 v46, v39, v133
	v_add_f32_e32 v191, v3, v36
	v_cndmask_b32_e64 v3, -v86, v86, s17
	v_cndmask_b32_e64 v36, -v196, v196, s17
	s_wait_dscnt 0x8
	v_dual_add_f32 v196, v27, v41 :: v_dual_add_f32 v197, v28, v43
	ds_bpermute_b32 v41, v39, v29
	ds_bpermute_b32 v43, v39, v30
	s_wait_dscnt 0x9
	v_add_f32_e32 v195, v3, v38
	s_wait_dscnt 0x8
	v_add_f32_e32 v198, v35, v45
	v_cndmask_b32_e64 v28, -v90, v90, s17
	v_cndmask_b32_e64 v38, -v147, v147, s17
	ds_bpermute_b32 v45, v39, v31
	v_cndmask_b32_e64 v3, -v89, v89, s17
	s_wait_dscnt 0x6
	v_add_f32_e32 v27, v36, v47
	v_add_f32_e32 v200, v28, v42
	;; [unrolled: 1-line block ×3, first 2 shown]
	ds_bpermute_b32 v38, v39, v33
	v_cndmask_b32_e64 v35, -v91, v91, s17
	v_cndmask_b32_e64 v36, -v133, v133, s17
	ds_bpermute_b32 v47, v39, v148
	s_wait_dscnt 0x7
	v_add_f32_e32 v199, v3, v40
	v_cndmask_b32_e64 v3, -v29, v29, s17
	v_cndmask_b32_e64 v29, -v30, v30, s17
	ds_bpermute_b32 v49, v39, v203
	s_wait_dscnt 0x6
	v_dual_add_f32 v201, v35, v44 :: v_dual_add_f32 v202, v36, v46
	v_cndmask_b32_e64 v30, -v31, v31, s17
	v_cndmask_b32_e64 v35, -v203, v203, s17
	ds_bpermute_b32 v36, v39, v32
	ds_bpermute_b32 v40, v39, v207
	;; [unrolled: 1-line block ×3, first 2 shown]
	s_wait_dscnt 0x7
	v_add_f32_e32 v204, v29, v43
	ds_bpermute_b32 v43, v39, v92
	v_add_f32_e32 v203, v3, v41
	ds_bpermute_b32 v41, v39, v8
	v_cndmask_b32_e64 v31, -v148, v148, s17
	s_wait_dscnt 0x8
	v_add_f32_e32 v205, v30, v45
	v_cndmask_b32_e64 v30, -v33, v33, s17
	ds_bpermute_b32 v33, v39, v34
	ds_bpermute_b32 v45, v39, v93
	;; [unrolled: 1-line block ×4, first 2 shown]
	s_wait_dscnt 0xb
	v_add_f32_e32 v208, v30, v38
	ds_bpermute_b32 v30, v39, v26
	s_wait_dscnt 0xb
	v_add_f32_e32 v206, v31, v47
	v_cndmask_b32_e64 v3, -v32, v32, s17
	v_cndmask_b32_e64 v31, -v207, v207, s17
	;; [unrolled: 1-line block ×3, first 2 shown]
	ds_bpermute_b32 v38, v39, v97
	v_cndmask_b32_e64 v8, -v8, v8, s17
	v_cndmask_b32_e64 v47, -v96, v96, s17
	s_wait_dscnt 0xa
	v_add_f32_e32 v207, v3, v36
	v_cndmask_b32_e64 v3, -v34, v34, s17
	v_cndmask_b32_e64 v36, -v92, v92, s17
	s_wait_dscnt 0x6
	v_add_f32_e32 v34, v8, v41
	v_cndmask_b32_e64 v8, -v26, v26, s17
	v_add_f32_e32 v29, v35, v49
	v_add_f32_e32 v35, v32, v42
	v_cndmask_b32_e64 v42, -v94, v94, s17
	v_xor_b32_e32 v41, 4, v1
	ds_bpermute_b32 v49, v39, v101
	v_add_f32_e32 v209, v31, v40
	ds_bpermute_b32 v31, v39, v210
	v_cndmask_b32_e64 v40, -v93, v93, s17
	s_wait_dscnt 0x5
	v_dual_add_f32 v56, v3, v33 :: v_dual_add_f32 v3, v42, v46
	v_add_f32_e32 v36, v36, v43
	ds_bpermute_b32 v43, v39, v5
	v_add_f32_e32 v33, v40, v45
	ds_bpermute_b32 v45, v39, v98
	ds_bpermute_b32 v46, v39, v99
	v_cmp_gt_i32_e64 s0, 32, v41
	v_cndmask_b32_e64 v42, -v97, v97, s17
	s_wait_dscnt 0x6
	v_add_f32_e32 v40, v8, v30
	v_add_f32_e32 v32, v47, v44
	v_cndmask_b32_e64 v26, -v210, v210, s17
	s_wait_alu 0xf1ff
	v_cndmask_b32_e64 v8, v1, v41, s0
	ds_bpermute_b32 v44, v39, v4
	s_wait_dscnt 0x6
	v_add_f32_e32 v30, v42, v38
	v_cndmask_b32_e64 v5, -v5, v5, s17
	v_cndmask_b32_e64 v47, -v99, v99, s17
	s_wait_dscnt 0x4
	v_dual_add_f32 v31, v26, v31 :: v_dual_lshlrev_b32 v38, 2, v8
	v_and_b32_e32 v50, 4, v0
	v_cndmask_b32_e64 v26, -v98, v98, s17
	ds_bpermute_b32 v8, v39, v2
	ds_bpermute_b32 v48, v39, v100
	;; [unrolled: 1-line block ×4, first 2 shown]
	v_cndmask_b32_e64 v4, -v4, v4, s17
	s_wait_dscnt 0x7
	v_add_f32_e32 v41, v5, v43
	s_wait_dscnt 0x5
	v_dual_add_f32 v43, v26, v45 :: v_dual_add_f32 v26, v47, v46
	v_cmp_eq_u32_e64 s0, 0, v50
	ds_bpermute_b32 v46, v38, v6
	ds_bpermute_b32 v47, v38, v104
	;; [unrolled: 1-line block ×4, first 2 shown]
	s_wait_dscnt 0x8
	v_add_f32_e32 v42, v4, v44
	v_cndmask_b32_e64 v2, -v2, v2, s17
	v_cndmask_b32_e64 v4, -v100, v100, s17
	;; [unrolled: 1-line block ×3, first 2 shown]
	s_wait_alu 0xf1ff
	v_cndmask_b32_e64 v44, -v102, v102, s0
	v_cndmask_b32_e64 v45, -v103, v103, s0
	ds_bpermute_b32 v53, v38, v106
	s_wait_dscnt 0x8
	v_dual_add_f32 v133, v2, v8 :: v_dual_add_f32 v148, v5, v49
	s_wait_dscnt 0x6
	v_add_f32_e32 v44, v44, v51
	v_cndmask_b32_e64 v2, -v6, v6, s0
	v_cndmask_b32_e64 v5, -v104, v104, s0
	v_add_f32_e32 v147, v4, v48
	s_wait_dscnt 0x5
	v_add_f32_e32 v4, v45, v52
	v_cndmask_b32_e64 v6, -v105, v105, s0
	v_cndmask_b32_e64 v49, -v107, v107, s0
	ds_bpermute_b32 v51, v38, v7
	ds_bpermute_b32 v52, v38, v108
	;; [unrolled: 1-line block ×5, first 2 shown]
	v_cndmask_b32_e64 v8, -v106, v106, s0
	s_wait_dscnt 0x8
	v_dual_add_f32 v45, v2, v46 :: v_dual_add_f32 v46, v5, v47
	s_wait_dscnt 0x7
	v_add_f32_e32 v47, v6, v50
	v_cndmask_b32_e64 v6, -v108, v108, s0
	s_wait_dscnt 0x6
	v_add_f32_e32 v5, v49, v54
	ds_bpermute_b32 v54, v38, v9
	ds_bpermute_b32 v59, v38, v112
	;; [unrolled: 1-line block ×9, first 2 shown]
	s_wait_dscnt 0xe
	v_add_f32_e32 v48, v8, v53
	v_cndmask_b32_e64 v2, -v7, v7, s0
	v_cndmask_b32_e64 v7, -v109, v109, s0
	;; [unrolled: 1-line block ×4, first 2 shown]
	ds_bpermute_b32 v65, v38, v117
	ds_bpermute_b32 v70, v38, v121
	ds_bpermute_b32 v71, v38, v122
	s_wait_dscnt 0x10
	v_add_f32_e32 v49, v2, v51
	s_wait_dscnt 0xe
	v_dual_add_f32 v50, v6, v52 :: v_dual_add_f32 v51, v7, v55
	s_wait_dscnt 0xc
	v_add_f32_e32 v6, v53, v58
	v_add_f32_e32 v52, v8, v57
	v_cndmask_b32_e64 v2, -v9, v9, s0
	v_cndmask_b32_e64 v7, -v112, v112, s0
	;; [unrolled: 1-line block ×4, first 2 shown]
	ds_bpermute_b32 v68, v38, v11
	ds_bpermute_b32 v69, v38, v120
	;; [unrolled: 1-line block ×3, first 2 shown]
	v_cndmask_b32_e64 v9, -v114, v114, s0
	s_wait_dscnt 0xd
	v_dual_add_f32 v53, v2, v54 :: v_dual_add_f32 v54, v7, v59
	s_wait_dscnt 0xb
	v_add_f32_e32 v7, v58, v62
	v_cndmask_b32_e64 v2, -v10, v10, s0
	v_add_f32_e32 v55, v8, v60
	v_cndmask_b32_e64 v8, -v116, v116, s0
	v_cndmask_b32_e64 v10, -v118, v118, s0
	;; [unrolled: 1-line block ×3, first 2 shown]
	s_wait_dscnt 0xa
	v_add_f32_e32 v57, v9, v61
	v_cndmask_b32_e64 v9, -v117, v117, s0
	s_wait_dscnt 0x9
	v_add_f32_e32 v58, v2, v63
	v_cndmask_b32_e64 v2, -v11, v11, s0
	v_cndmask_b32_e64 v11, -v122, v122, s0
	ds_bpermute_b32 v74, v38, v125
	ds_bpermute_b32 v77, v38, v131
	s_wait_dscnt 0x9
	v_add_f32_e32 v61, v10, v66
	v_cndmask_b32_e64 v10, -v121, v121, s0
	s_wait_dscnt 0x8
	v_dual_add_f32 v59, v8, v64 :: v_dual_add_f32 v8, v62, v67
	ds_bpermute_b32 v67, v38, v12
	s_wait_dscnt 0x8
	v_add_f32_e32 v60, v9, v65
	v_cndmask_b32_e64 v9, -v120, v120, s0
	v_cndmask_b32_e64 v66, -v123, v123, s0
	ds_bpermute_b32 v73, v38, v124
	ds_bpermute_b32 v75, v38, v126
	;; [unrolled: 1-line block ×3, first 2 shown]
	s_wait_dscnt 0xa
	v_add_f32_e32 v64, v10, v70
	v_cndmask_b32_e64 v70, -v127, v127, s0
	s_wait_dscnt 0x9
	v_add_f32_e32 v65, v11, v71
	ds_bpermute_b32 v71, v38, v13
	ds_bpermute_b32 v78, v38, v149
	s_wait_dscnt 0x9
	v_dual_add_f32 v62, v2, v68 :: v_dual_add_f32 v63, v9, v69
	v_cndmask_b32_e64 v11, -v125, v125, s0
	s_wait_dscnt 0x8
	v_add_f32_e32 v9, v66, v72
	ds_bpermute_b32 v72, v38, v129
	ds_bpermute_b32 v79, v38, v150
	v_cndmask_b32_e64 v2, -v12, v12, s0
	v_cndmask_b32_e64 v10, -v124, v124, s0
	;; [unrolled: 1-line block ×3, first 2 shown]
	s_wait_dscnt 0x9
	v_add_f32_e32 v68, v11, v74
	v_cndmask_b32_e64 v11, -v129, v129, s0
	s_wait_dscnt 0x7
	v_add_f32_e32 v66, v2, v67
	v_cndmask_b32_e64 v2, -v13, v13, s0
	v_cndmask_b32_e64 v13, -v149, v149, s0
	;; [unrolled: 1-line block ×3, first 2 shown]
	ds_bpermute_b32 v80, v38, v152
	s_wait_dscnt 0x7
	v_add_f32_e32 v67, v10, v73
	s_wait_dscnt 0x5
	v_add_f32_e32 v10, v70, v76
	ds_bpermute_b32 v82, v38, v154
	s_wait_dscnt 0x4
	v_dual_add_f32 v70, v2, v71 :: v_dual_add_f32 v73, v13, v78
	v_cndmask_b32_e64 v78, -v154, v154, s0
	v_add_f32_e32 v69, v12, v75
	ds_bpermute_b32 v75, v38, v14
	ds_bpermute_b32 v76, v38, v151
	;; [unrolled: 1-line block ×3, first 2 shown]
	s_wait_dscnt 0x6
	v_add_f32_e32 v71, v11, v72
	ds_bpermute_b32 v89, v38, v160
	s_wait_dscnt 0x6
	v_add_f32_e32 v11, v74, v79
	ds_bpermute_b32 v79, v38, v15
	ds_bpermute_b32 v83, v38, v155
	;; [unrolled: 1-line block ×6, first 2 shown]
	v_cndmask_b32_e64 v12, -v131, v131, s0
	v_cndmask_b32_e64 v2, -v14, v14, s0
	ds_bpermute_b32 v88, v38, v159
	ds_bpermute_b32 v90, v38, v161
	;; [unrolled: 1-line block ×4, first 2 shown]
	v_add_f32_e32 v72, v12, v77
	v_cndmask_b32_e64 v12, -v151, v151, s0
	v_cndmask_b32_e64 v13, -v152, v152, s0
	;; [unrolled: 1-line block ×3, first 2 shown]
	s_wait_dscnt 0xd
	v_add_f32_e32 v74, v2, v75
	v_cndmask_b32_e64 v2, -v15, v15, s0
	ds_bpermute_b32 v93, v38, v163
	ds_bpermute_b32 v96, v38, v166
	s_wait_dscnt 0xe
	v_add_f32_e32 v75, v12, v76
	v_add_f32_e32 v76, v13, v80
	;; [unrolled: 1-line block ×3, first 2 shown]
	v_cndmask_b32_e64 v13, -v155, v155, s0
	v_cndmask_b32_e64 v15, -v157, v157, s0
	;; [unrolled: 1-line block ×3, first 2 shown]
	s_wait_dscnt 0xb
	v_add_f32_e32 v78, v2, v79
	v_cndmask_b32_e64 v2, -v16, v16, s0
	ds_bpermute_b32 v94, v38, v164
	v_add_f32_e32 v77, v14, v81
	v_cndmask_b32_e64 v14, -v156, v156, s0
	s_wait_dscnt 0xb
	v_add_f32_e32 v79, v13, v83
	s_wait_dscnt 0x9
	v_add_f32_e32 v81, v15, v85
	v_cndmask_b32_e64 v15, -v160, v160, s0
	v_cndmask_b32_e64 v16, -v161, v161, s0
	v_add_f32_e32 v80, v14, v84
	v_cndmask_b32_e64 v14, -v159, v159, s0
	ds_bpermute_b32 v92, v38, v17
	ds_bpermute_b32 v104, v38, v176
	s_wait_dscnt 0xa
	v_add_f32_e32 v13, v82, v86
	v_cndmask_b32_e64 v86, -v162, v162, s0
	s_wait_dscnt 0x7
	v_dual_add_f32 v82, v2, v87 :: v_dual_add_f32 v85, v16, v90
	v_cndmask_b32_e64 v2, -v17, v17, s0
	v_cndmask_b32_e64 v17, -v165, v165, s0
	v_add_f32_e32 v84, v15, v89
	v_cndmask_b32_e64 v15, -v163, v163, s0
	v_cndmask_b32_e64 v90, -v166, v166, s0
	ds_bpermute_b32 v98, v38, v168
	ds_bpermute_b32 v99, v38, v169
	;; [unrolled: 1-line block ×3, first 2 shown]
	s_wait_dscnt 0x8
	v_add_f32_e32 v89, v17, v95
	v_cndmask_b32_e64 v17, -v168, v168, s0
	v_add_f32_e32 v83, v14, v88
	s_wait_dscnt 0x7
	v_dual_add_f32 v14, v86, v91 :: v_dual_add_f32 v87, v15, v93
	ds_bpermute_b32 v91, v38, v18
	ds_bpermute_b32 v97, v38, v167
	;; [unrolled: 1-line block ×5, first 2 shown]
	s_wait_dscnt 0xb
	v_add_f32_e32 v15, v90, v96
	ds_bpermute_b32 v96, v38, v171
	v_cndmask_b32_e64 v16, -v164, v164, s0
	ds_bpermute_b32 v101, v38, v172
	ds_bpermute_b32 v102, v38, v173
	;; [unrolled: 1-line block ×4, first 2 shown]
	s_wait_dscnt 0xf
	v_add_f32_e32 v88, v16, v94
	v_cndmask_b32_e64 v16, -v167, v167, s0
	s_wait_dscnt 0xe
	v_add_f32_e32 v86, v2, v92
	v_cndmask_b32_e64 v2, -v18, v18, s0
	v_cndmask_b32_e64 v18, -v169, v169, s0
	;; [unrolled: 1-line block ×3, first 2 shown]
	s_wait_dscnt 0xc
	v_add_f32_e32 v92, v17, v98
	v_cndmask_b32_e64 v17, -v171, v171, s0
	s_wait_dscnt 0x9
	v_add_f32_e32 v90, v2, v91
	v_add_f32_e32 v93, v18, v99
	v_cndmask_b32_e64 v2, -v19, v19, s0
	v_cndmask_b32_e64 v98, -v174, v174, s0
	ds_bpermute_b32 v99, v38, v20
	s_wait_dscnt 0x9
	v_dual_add_f32 v91, v16, v97 :: v_dual_add_f32 v16, v94, v100
	v_cndmask_b32_e64 v19, -v173, v173, s0
	ds_bpermute_b32 v100, v38, v175
	ds_bpermute_b32 v106, v38, v178
	s_wait_dscnt 0x7
	v_dual_add_f32 v94, v2, v95 :: v_dual_add_f32 v95, v17, v96
	ds_bpermute_b32 v109, v38, v181
	ds_bpermute_b32 v122, v38, v192
	v_add_f32_e32 v17, v98, v103
	ds_bpermute_b32 v103, v38, v21
	ds_bpermute_b32 v107, v38, v179
	ds_bpermute_b32 v110, v38, v182
	ds_bpermute_b32 v114, v38, v185
	v_cndmask_b32_e64 v18, -v172, v172, s0
	v_cndmask_b32_e64 v2, -v20, v20, s0
	;; [unrolled: 1-line block ×3, first 2 shown]
	ds_bpermute_b32 v111, v38, v22
	ds_bpermute_b32 v112, v38, v183
	;; [unrolled: 1-line block ×5, first 2 shown]
	s_wait_dscnt 0x10
	v_dual_add_f32 v96, v18, v101 :: v_dual_add_f32 v97, v19, v102
	v_cndmask_b32_e64 v18, -v175, v175, s0
	v_cndmask_b32_e64 v19, -v176, v176, s0
	;; [unrolled: 1-line block ×3, first 2 shown]
	s_wait_dscnt 0xd
	v_dual_add_f32 v98, v2, v99 :: v_dual_add_f32 v101, v20, v105
	v_cndmask_b32_e64 v2, -v21, v21, s0
	v_cndmask_b32_e64 v20, -v180, v180, s0
	;; [unrolled: 1-line block ×3, first 2 shown]
	ds_bpermute_b32 v125, v38, v196
	s_wait_dscnt 0xd
	v_add_f32_e32 v99, v18, v100
	v_add_f32_e32 v100, v19, v104
	s_wait_dscnt 0xb
	v_dual_add_f32 v18, v102, v106 :: v_dual_add_f32 v105, v21, v109
	v_cndmask_b32_e64 v19, -v179, v179, s0
	v_cndmask_b32_e64 v106, -v182, v182, s0
	v_add_f32_e32 v104, v20, v108
	v_cndmask_b32_e64 v20, -v183, v183, s0
	s_wait_dscnt 0x9
	v_add_f32_e32 v102, v2, v103
	v_cndmask_b32_e64 v2, -v22, v22, s0
	v_cndmask_b32_e64 v21, -v184, v184, s0
	;; [unrolled: 1-line block ×3, first 2 shown]
	s_wait_dscnt 0x8
	v_add_f32_e32 v103, v19, v107
	ds_bpermute_b32 v116, v38, v23
	ds_bpermute_b32 v118, v38, v188
	;; [unrolled: 1-line block ×3, first 2 shown]
	v_add_f32_e32 v108, v21, v113
	v_cndmask_b32_e64 v21, -v187, v187, s0
	ds_bpermute_b32 v128, v38, v200
	s_wait_dscnt 0xb
	v_add_f32_e32 v19, v106, v110
	v_cndmask_b32_e64 v110, -v186, v186, s0
	ds_bpermute_b32 v136, v38, v207
	s_wait_dscnt 0xb
	v_add_f32_e32 v109, v22, v114
	v_cndmask_b32_e64 v114, -v190, v190, s0
	s_wait_dscnt 0x7
	v_dual_add_f32 v106, v2, v111 :: v_dual_add_f32 v111, v21, v117
	v_add_f32_e32 v107, v20, v112
	ds_bpermute_b32 v121, v38, v191
	ds_bpermute_b32 v123, v38, v193
	;; [unrolled: 1-line block ×4, first 2 shown]
	s_wait_dscnt 0xa
	v_add_f32_e32 v21, v114, v120
	ds_bpermute_b32 v120, v38, v195
	v_add_f32_e32 v20, v110, v115
	ds_bpermute_b32 v115, v38, v24
	v_cndmask_b32_e64 v2, -v23, v23, s0
	v_cndmask_b32_e64 v22, -v188, v188, s0
	;; [unrolled: 1-line block ×3, first 2 shown]
	ds_bpermute_b32 v126, v38, v197
	ds_bpermute_b32 v127, v38, v198
	s_wait_dscnt 0xc
	v_add_f32_e32 v110, v2, v116
	v_cndmask_b32_e64 v2, -v24, v24, s0
	s_wait_dscnt 0xa
	v_add_f32_e32 v113, v23, v119
	v_cndmask_b32_e64 v24, -v193, v193, s0
	v_add_f32_e32 v112, v22, v118
	v_cndmask_b32_e64 v22, -v191, v191, s0
	v_cndmask_b32_e64 v118, -v194, v194, s0
	ds_bpermute_b32 v119, v38, v25
	s_wait_dscnt 0x7
	v_add_f32_e32 v117, v24, v123
	ds_bpermute_b32 v123, v38, v27
	ds_bpermute_b32 v129, v38, v201
	;; [unrolled: 1-line block ×3, first 2 shown]
	v_cndmask_b32_e64 v23, -v192, v192, s0
	v_cndmask_b32_e64 v24, -v196, v196, s0
	s_wait_dscnt 0x6
	v_add_f32_e32 v114, v2, v115
	v_add_f32_e32 v115, v22, v121
	;; [unrolled: 1-line block ×3, first 2 shown]
	ds_bpermute_b32 v124, v38, v199
	v_add_f32_e32 v116, v23, v122
	v_cndmask_b32_e64 v2, -v25, v25, s0
	v_cndmask_b32_e64 v23, -v195, v195, s0
	;; [unrolled: 1-line block ×4, first 2 shown]
	ds_bpermute_b32 v132, v38, v204
	ds_bpermute_b32 v131, v38, v203
	;; [unrolled: 1-line block ×3, first 2 shown]
	s_wait_dscnt 0x7
	v_dual_add_f32 v121, v25, v126 :: v_dual_add_f32 v118, v2, v119
	v_dual_add_f32 v119, v23, v120 :: v_dual_add_f32 v120, v24, v125
	v_add_f32_e32 v23, v122, v127
	v_cndmask_b32_e64 v2, -v27, v27, s0
	v_cndmask_b32_e64 v24, -v199, v199, s0
	;; [unrolled: 1-line block ×5, first 2 shown]
	ds_bpermute_b32 v127, v38, v28
	ds_bpermute_b32 v134, v38, v205
	;; [unrolled: 1-line block ×3, first 2 shown]
	s_wait_dscnt 0x8
	v_add_f32_e32 v125, v27, v129
	v_cndmask_b32_e64 v27, -v204, v204, s0
	s_wait_dscnt 0x6
	v_dual_add_f32 v122, v2, v123 :: v_dual_add_f32 v123, v24, v124
	v_add_f32_e32 v124, v25, v128
	v_cndmask_b32_e64 v25, -v203, v203, s0
	v_add_f32_e32 v24, v126, v130
	ds_bpermute_b32 v130, v38, v29
	v_cndmask_b32_e64 v2, -v28, v28, s0
	v_cndmask_b32_e64 v28, -v205, v205, s0
	;; [unrolled: 1-line block ×3, first 2 shown]
	s_wait_dscnt 0x6
	v_add_f32_e32 v129, v27, v132
	ds_bpermute_b32 v132, v38, v56
	ds_bpermute_b32 v139, v38, v35
	;; [unrolled: 1-line block ×3, first 2 shown]
	v_cndmask_b32_e64 v33, -v33, v33, s0
	v_cndmask_b32_e64 v27, -v207, v207, s0
	s_wait_dscnt 0x6
	v_add_f32_e32 v126, v2, v127
	v_cndmask_b32_e64 v2, -v29, v29, s0
	v_add_f32_e32 v127, v25, v131
	v_add_f32_e32 v25, v128, v135
	ds_bpermute_b32 v128, v38, v32
	s_wait_dscnt 0x6
	v_add_f32_e32 v131, v28, v134
	v_cndmask_b32_e64 v28, -v208, v208, s0
	ds_bpermute_b32 v134, v38, v34
	v_cndmask_b32_e64 v29, -v209, v209, s0
	ds_bpermute_b32 v135, v38, v36
	s_wait_dscnt 0x6
	v_add_f32_e32 v149, v2, v130
	v_cndmask_b32_e64 v2, -v32, v32, s0
	ds_bpermute_b32 v32, v38, v3
	ds_bpermute_b32 v130, v38, v40
	v_add_f32_e32 v151, v28, v137
	v_cndmask_b32_e64 v28, -v56, v56, s0
	v_cndmask_b32_e64 v35, -v35, v35, s0
	;; [unrolled: 1-line block ×3, first 2 shown]
	v_add_f32_e32 v150, v27, v136
	v_add_f32_e32 v152, v29, v138
	s_wait_dscnt 0x7
	v_add_f32_e32 v56, v28, v132
	ds_bpermute_b32 v132, v38, v43
	v_cndmask_b32_e64 v29, -v34, v34, s0
	ds_bpermute_b32 v136, v38, v31
	v_cndmask_b32_e64 v34, -v36, v36, s0
	;; [unrolled: 2-line block ×3, first 2 shown]
	s_wait_dscnt 0x6
	v_add_f32_e32 v28, v29, v134
	v_and_b32_e32 v134, 8, v0
	v_cndmask_b32_e64 v30, -v30, v30, s0
	s_wait_dscnt 0x4
	v_add_f32_e32 v179, v3, v32
	v_cndmask_b32_e64 v32, -v42, v42, s0
	v_add_f32_e32 v27, v35, v139
	v_add_f32_e32 v35, v2, v128
	;; [unrolled: 1-line block ×3, first 2 shown]
	v_xor_b32_e32 v33, 8, v1
	ds_bpermute_b32 v128, v38, v42
	ds_bpermute_b32 v42, v38, v147
	v_cmp_gt_i32_e64 s18, 32, v33
	s_wait_dscnt 0x2
	v_add_f32_e32 v181, v30, v36
	v_cndmask_b32_e64 v30, -v133, v133, s0
	s_wait_alu 0xf1ff
	v_cndmask_b32_e64 v3, v1, v33, s18
	v_cndmask_b32_e64 v33, -v43, v43, s0
	v_cmp_eq_u32_e64 s18, 0, v134
	ds_bpermute_b32 v43, v38, v148
	v_add_f32_e32 v177, v31, v136
	v_cndmask_b32_e64 v31, -v41, v41, s0
	v_add_f32_e32 v155, v33, v132
	s_wait_alu 0xf1ff
	v_cndmask_b32_e64 v33, -v44, v44, s18
	v_add_f32_e32 v29, v34, v135
	v_cndmask_b32_e64 v34, -v40, v40, s0
	ds_bpermute_b32 v40, v38, v41
	s_wait_dscnt 0x3
	v_add_f32_e32 v154, v32, v128
	v_cndmask_b32_e64 v32, -v148, v148, s0
	ds_bpermute_b32 v41, v38, v133
	v_add_f32_e32 v180, v34, v130
	ds_bpermute_b32 v34, v38, v26
	v_cndmask_b32_e64 v26, -v26, v26, s0
	s_wait_dscnt 0x3
	v_add_f32_e32 v172, v32, v43
	v_cndmask_b32_e64 v32, -v47, v47, s18
	s_wait_dscnt 0x2
	v_add_f32_e32 v153, v31, v40
	;; [unrolled: 3-line block ×4, first 2 shown]
	v_add_f32_e32 v171, v31, v42
	v_cndmask_b32_e64 v31, -v46, v46, s18
	v_lshlrev_b32_e32 v3, 2, v3
	ds_bpermute_b32 v130, v3, v44
	ds_bpermute_b32 v44, v3, v46
	s_wait_dscnt 0x1
	v_add_f32_e32 v26, v33, v130
	s_wait_dscnt 0x0
	v_add_f32_e32 v148, v31, v44
	ds_bpermute_b32 v128, v3, v47
	ds_bpermute_b32 v43, v3, v51
	;; [unrolled: 1-line block ×11, first 2 shown]
	v_cndmask_b32_e64 v4, -v4, v4, s18
	v_cndmask_b32_e64 v33, -v48, v48, s18
	;; [unrolled: 1-line block ×3, first 2 shown]
	ds_bpermute_b32 v47, v3, v57
	v_cndmask_b32_e64 v5, -v5, v5, s18
	ds_bpermute_b32 v48, v3, v85
	s_wait_dscnt 0xc
	v_add_f32_e32 v156, v32, v128
	v_cndmask_b32_e64 v32, -v51, v51, s18
	s_wait_dscnt 0x8
	v_add_f32_e32 v133, v4, v36
	s_wait_dscnt 0x7
	v_add_f32_e32 v4, v33, v132
	v_add_f32_e32 v160, v32, v43
	v_cndmask_b32_e64 v32, -v55, v55, s18
	ds_bpermute_b32 v43, v3, v60
	v_cndmask_b32_e64 v33, -v52, v52, s18
	ds_bpermute_b32 v36, v3, v6
	s_wait_dscnt 0x7
	v_add_f32_e32 v159, v31, v42
	v_add_f32_e32 v164, v32, v46
	v_cndmask_b32_e64 v32, -v60, v60, s18
	v_add_f32_e32 v147, v30, v40
	v_cndmask_b32_e64 v30, -v49, v49, s18
	ds_bpermute_b32 v40, v3, v53
	v_cndmask_b32_e64 v31, -v54, v54, s18
	ds_bpermute_b32 v42, v3, v59
	s_wait_dscnt 0x7
	v_dual_add_f32 v157, v5, v34 :: v_dual_add_f32 v158, v30, v41
	ds_bpermute_b32 v41, v3, v58
	v_add_f32_e32 v30, v33, v45
	ds_bpermute_b32 v45, v3, v61
	v_cndmask_b32_e64 v5, -v6, v6, s18
	v_cndmask_b32_e64 v6, -v53, v53, s18
	ds_bpermute_b32 v34, v3, v7
	s_wait_dscnt 0x9
	v_add_f32_e32 v163, v31, v44
	ds_bpermute_b32 v44, v3, v63
	v_cndmask_b32_e64 v33, -v57, v57, s18
	s_wait_dscnt 0x7
	v_add_f32_e32 v168, v32, v43
	ds_bpermute_b32 v46, v3, v64
	ds_bpermute_b32 v43, v3, v68
	s_wait_dscnt 0x7
	v_add_f32_e32 v162, v6, v40
	v_cndmask_b32_e64 v6, -v58, v58, s18
	v_add_f32_e32 v161, v5, v36
	v_cndmask_b32_e64 v5, -v7, v7, s18
	v_cndmask_b32_e64 v7, -v59, v59, s18
	ds_bpermute_b32 v36, v3, v8
	ds_bpermute_b32 v40, v3, v62
	s_wait_dscnt 0x7
	v_add_f32_e32 v166, v6, v41
	v_cndmask_b32_e64 v6, -v62, v62, s18
	v_add_f32_e32 v31, v33, v47
	v_cndmask_b32_e64 v33, -v61, v61, s18
	ds_bpermute_b32 v47, v3, v65
	ds_bpermute_b32 v41, v3, v66
	s_wait_dscnt 0x8
	v_add_f32_e32 v32, v33, v45
	ds_bpermute_b32 v45, v3, v69
	v_add_f32_e32 v167, v7, v42
	v_cndmask_b32_e64 v7, -v63, v63, s18
	v_cndmask_b32_e64 v33, -v65, v65, s18
	ds_bpermute_b32 v42, v3, v67
	s_wait_dscnt 0x8
	v_add_f32_e32 v65, v7, v44
	ds_bpermute_b32 v44, v3, v71
	v_add_f32_e32 v165, v5, v34
	ds_bpermute_b32 v34, v3, v9
	v_cndmask_b32_e64 v5, -v8, v8, s18
	v_cndmask_b32_e64 v7, -v67, v67, s18
	;; [unrolled: 1-line block ×3, first 2 shown]
	s_wait_dscnt 0x6
	v_add_f32_e32 v64, v6, v40
	v_cndmask_b32_e64 v6, -v66, v66, s18
	v_add_f32_e32 v63, v5, v36
	ds_bpermute_b32 v36, v3, v10
	v_cndmask_b32_e64 v5, -v9, v9, s18
	ds_bpermute_b32 v40, v3, v70
	v_cndmask_b32_e64 v9, -v69, v69, s18
	s_wait_dscnt 0x2
	v_add_f32_e32 v66, v5, v34
	v_cndmask_b32_e64 v5, -v10, v10, s18
	v_add_f32_e32 v169, v8, v46
	v_cndmask_b32_e64 v8, -v68, v68, s18
	;; [unrolled: 2-line block ×3, first 2 shown]
	ds_bpermute_b32 v46, v3, v72
	ds_bpermute_b32 v10, v3, v11
	v_add_f32_e32 v69, v8, v43
	v_cndmask_b32_e64 v8, -v72, v72, s18
	ds_bpermute_b32 v42, v3, v75
	v_add_f32_e32 v72, v7, v44
	v_cndmask_b32_e64 v7, -v75, v75, s18
	v_add_f32_e32 v33, v33, v47
	ds_bpermute_b32 v47, v3, v73
	v_add_f32_e32 v34, v9, v45
	v_cndmask_b32_e64 v9, -v73, v73, s18
	v_add_f32_e32 v67, v6, v41
	v_cndmask_b32_e64 v6, -v70, v70, s18
	ds_bpermute_b32 v41, v3, v74
	ds_bpermute_b32 v43, v3, v76
	;; [unrolled: 1-line block ×3, first 2 shown]
	s_wait_dscnt 0x8
	v_add_f32_e32 v70, v5, v36
	v_cndmask_b32_e64 v5, -v11, v11, s18
	ds_bpermute_b32 v11, v3, v12
	ds_bpermute_b32 v44, v3, v79
	s_wait_dscnt 0x9
	v_add_f32_e32 v71, v6, v40
	ds_bpermute_b32 v40, v3, v78
	s_wait_dscnt 0x9
	v_add_f32_e32 v73, v8, v46
	v_cndmask_b32_e64 v6, -v74, v74, s18
	v_cndmask_b32_e64 v8, -v76, v76, s18
	ds_bpermute_b32 v46, v3, v80
	s_wait_dscnt 0x9
	v_add_f32_e32 v74, v5, v10
	s_wait_dscnt 0x8
	v_add_f32_e32 v76, v7, v42
	;; [unrolled: 2-line block ×3, first 2 shown]
	v_cndmask_b32_e64 v9, -v77, v77, s18
	ds_bpermute_b32 v47, v3, v81
	v_cndmask_b32_e64 v5, -v12, v12, s18
	v_cndmask_b32_e64 v7, -v79, v79, s18
	ds_bpermute_b32 v10, v3, v13
	s_wait_dscnt 0x8
	v_add_f32_e32 v75, v6, v41
	v_cndmask_b32_e64 v6, -v78, v78, s18
	ds_bpermute_b32 v12, v3, v82
	s_wait_dscnt 0x6
	v_add_f32_e32 v78, v5, v11
	v_cndmask_b32_e64 v5, -v13, v13, s18
	v_add_f32_e32 v77, v8, v43
	v_cndmask_b32_e64 v8, -v80, v80, s18
	ds_bpermute_b32 v43, v3, v83
	s_wait_dscnt 0x6
	v_add_f32_e32 v80, v7, v44
	v_cndmask_b32_e64 v7, -v83, v83, s18
	v_add_f32_e32 v41, v9, v45
	ds_bpermute_b32 v45, v3, v84
	ds_bpermute_b32 v11, v3, v14
	;; [unrolled: 1-line block ×3, first 2 shown]
	v_cndmask_b32_e64 v9, -v81, v81, s18
	s_wait_dscnt 0x8
	v_add_f32_e32 v79, v6, v40
	ds_bpermute_b32 v40, v3, v87
	s_wait_dscnt 0x8
	v_add_f32_e32 v81, v8, v46
	v_cndmask_b32_e64 v6, -v82, v82, s18
	s_wait_dscnt 0x7
	v_add_f32_e32 v42, v9, v47
	v_cndmask_b32_e64 v8, -v84, v84, s18
	v_cndmask_b32_e64 v9, -v85, v85, s18
	ds_bpermute_b32 v44, v3, v88
	ds_bpermute_b32 v46, v3, v89
	s_wait_dscnt 0x8
	v_add_f32_e32 v82, v5, v10
	v_cndmask_b32_e64 v5, -v14, v14, s18
	ds_bpermute_b32 v14, v3, v91
	s_wait_dscnt 0x7
	v_dual_add_f32 v84, v7, v43 :: v_dual_add_f32 v43, v9, v48
	v_cndmask_b32_e64 v9, -v89, v89, s18
	v_add_f32_e32 v83, v6, v12
	v_cndmask_b32_e64 v6, -v86, v86, s18
	ds_bpermute_b32 v10, v3, v15
	ds_bpermute_b32 v12, v3, v90
	;; [unrolled: 1-line block ×3, first 2 shown]
	s_wait_dscnt 0x8
	v_add_f32_e32 v86, v5, v11
	v_cndmask_b32_e64 v5, -v15, v15, s18
	v_add_f32_e32 v85, v8, v45
	ds_bpermute_b32 v45, v3, v92
	ds_bpermute_b32 v15, v3, v95
	v_cndmask_b32_e64 v7, -v87, v87, s18
	ds_bpermute_b32 v11, v3, v16
	s_wait_dscnt 0xa
	v_add_f32_e32 v87, v6, v13
	ds_bpermute_b32 v13, v3, v94
	v_cndmask_b32_e64 v8, -v88, v88, s18
	s_wait_dscnt 0xa
	v_add_f32_e32 v88, v7, v40
	v_cndmask_b32_e64 v7, -v91, v91, s18
	v_cndmask_b32_e64 v6, -v90, v90, s18
	ds_bpermute_b32 v40, v3, v96
	s_wait_dscnt 0x9
	v_dual_add_f32 v89, v8, v44 :: v_dual_add_f32 v44, v9, v46
	v_cndmask_b32_e64 v8, -v92, v92, s18
	v_cndmask_b32_e64 v9, -v93, v93, s18
	s_wait_dscnt 0x8
	v_add_f32_e32 v92, v7, v14
	v_cndmask_b32_e64 v7, -v95, v95, s18
	ds_bpermute_b32 v46, v3, v97
	s_wait_dscnt 0x8
	v_add_f32_e32 v90, v5, v10
	v_cndmask_b32_e64 v5, -v16, v16, s18
	ds_bpermute_b32 v10, v3, v17
	;; [unrolled: 4-line block ×3, first 2 shown]
	s_wait_dscnt 0x6
	v_add_f32_e32 v96, v7, v15
	v_cndmask_b32_e64 v7, -v99, v99, s18
	v_add_f32_e32 v45, v9, v47
	v_cndmask_b32_e64 v9, -v97, v97, s18
	;; [unrolled: 2-line block ×3, first 2 shown]
	ds_bpermute_b32 v12, v3, v98
	ds_bpermute_b32 v16, v3, v100
	;; [unrolled: 1-line block ×3, first 2 shown]
	s_wait_dscnt 0x8
	v_add_f32_e32 v94, v5, v11
	ds_bpermute_b32 v11, v3, v18
	s_wait_dscnt 0x8
	v_add_f32_e32 v95, v6, v13
	ds_bpermute_b32 v13, v3, v102
	ds_bpermute_b32 v15, v3, v103
	s_wait_dscnt 0x9
	v_add_f32_e32 v97, v8, v40
	v_cndmask_b32_e64 v5, -v17, v17, s18
	v_cndmask_b32_e64 v6, -v98, v98, s18
	ds_bpermute_b32 v40, v3, v105
	s_wait_dscnt 0x9
	v_add_f32_e32 v46, v9, v46
	v_cndmask_b32_e64 v8, -v100, v100, s18
	v_cndmask_b32_e64 v9, -v101, v101, s18
	ds_bpermute_b32 v17, v3, v104
	s_wait_dscnt 0x9
	v_add_f32_e32 v98, v5, v10
	s_wait_dscnt 0x8
	v_add_f32_e32 v100, v7, v14
	v_cndmask_b32_e64 v5, -v18, v18, s18
	v_cndmask_b32_e64 v7, -v103, v103, s18
	ds_bpermute_b32 v10, v3, v19
	s_wait_dscnt 0x8
	v_add_f32_e32 v99, v6, v12
	v_cndmask_b32_e64 v6, -v102, v102, s18
	ds_bpermute_b32 v12, v3, v106
	ds_bpermute_b32 v14, v3, v107
	;; [unrolled: 1-line block ×3, first 2 shown]
	s_wait_dscnt 0xa
	v_add_f32_e32 v101, v8, v16
	s_wait_dscnt 0x9
	v_add_f32_e32 v47, v9, v47
	v_cndmask_b32_e64 v8, -v104, v104, s18
	v_cndmask_b32_e64 v9, -v105, v105, s18
	ds_bpermute_b32 v16, v3, v108
	s_wait_dscnt 0x8
	v_dual_add_f32 v102, v5, v11 :: v_dual_add_f32 v103, v6, v13
	s_wait_dscnt 0x7
	v_add_f32_e32 v104, v7, v15
	ds_bpermute_b32 v11, v3, v20
	ds_bpermute_b32 v13, v3, v110
	;; [unrolled: 1-line block ×3, first 2 shown]
	s_wait_dscnt 0x9
	v_add_f32_e32 v48, v9, v40
	v_cndmask_b32_e64 v5, -v19, v19, s18
	v_cndmask_b32_e64 v6, -v106, v106, s18
	;; [unrolled: 1-line block ×4, first 2 shown]
	ds_bpermute_b32 v19, v3, v113
	s_wait_dscnt 0x8
	v_add_f32_e32 v106, v5, v10
	v_cndmask_b32_e64 v5, -v20, v20, s18
	v_add_f32_e32 v105, v8, v17
	v_cndmask_b32_e64 v8, -v108, v108, s18
	ds_bpermute_b32 v17, v3, v112
	s_wait_dscnt 0x7
	v_add_f32_e32 v108, v7, v14
	s_wait_dscnt 0x6
	v_add_f32_e32 v49, v9, v18
	v_cndmask_b32_e64 v7, -v111, v111, s18
	v_add_f32_e32 v107, v6, v12
	v_cndmask_b32_e64 v6, -v110, v110, s18
	ds_bpermute_b32 v10, v3, v21
	ds_bpermute_b32 v12, v3, v114
	;; [unrolled: 1-line block ×4, first 2 shown]
	v_cndmask_b32_e64 v9, -v113, v113, s18
	s_wait_dscnt 0x9
	v_add_f32_e32 v109, v8, v16
	v_cndmask_b32_e64 v8, -v112, v112, s18
	ds_bpermute_b32 v16, v3, v116
	s_wait_dscnt 0x9
	v_add_f32_e32 v110, v5, v11
	s_wait_dscnt 0x7
	v_add_f32_e32 v112, v7, v15
	v_cndmask_b32_e64 v5, -v21, v21, s18
	v_add_f32_e32 v111, v6, v13
	ds_bpermute_b32 v11, v3, v22
	ds_bpermute_b32 v13, v3, v118
	;; [unrolled: 1-line block ×3, first 2 shown]
	s_wait_dscnt 0x9
	v_add_f32_e32 v50, v9, v19
	v_cndmask_b32_e64 v6, -v114, v114, s18
	v_cndmask_b32_e64 v7, -v115, v115, s18
	;; [unrolled: 1-line block ×3, first 2 shown]
	ds_bpermute_b32 v19, v3, v121
	s_wait_dscnt 0x8
	v_add_f32_e32 v114, v5, v10
	v_cndmask_b32_e64 v5, -v22, v22, s18
	v_add_f32_e32 v113, v8, v17
	v_cndmask_b32_e64 v8, -v116, v116, s18
	ds_bpermute_b32 v17, v3, v120
	s_wait_dscnt 0x7
	v_add_f32_e32 v116, v7, v14
	s_wait_dscnt 0x6
	v_add_f32_e32 v51, v9, v18
	v_cndmask_b32_e64 v7, -v119, v119, s18
	v_cndmask_b32_e64 v9, -v121, v121, s18
	v_add_f32_e32 v115, v6, v12
	v_cndmask_b32_e64 v6, -v118, v118, s18
	ds_bpermute_b32 v10, v3, v23
	ds_bpermute_b32 v12, v3, v122
	;; [unrolled: 1-line block ×4, first 2 shown]
	s_wait_dscnt 0x8
	v_add_f32_e32 v118, v5, v11
	v_cndmask_b32_e64 v5, -v23, v23, s18
	v_add_f32_e32 v117, v8, v16
	v_cndmask_b32_e64 v8, -v120, v120, s18
	ds_bpermute_b32 v16, v3, v124
	s_wait_dscnt 0x7
	v_add_f32_e32 v120, v7, v15
	v_cndmask_b32_e64 v7, -v123, v123, s18
	v_add_f32_e32 v119, v6, v13
	ds_bpermute_b32 v13, v3, v126
	s_wait_dscnt 0x7
	v_add_f32_e32 v52, v9, v19
	v_cndmask_b32_e64 v6, -v122, v122, s18
	v_cndmask_b32_e64 v9, -v125, v125, s18
	ds_bpermute_b32 v19, v3, v131
	ds_bpermute_b32 v11, v3, v24
	;; [unrolled: 1-line block ×3, first 2 shown]
	s_wait_dscnt 0x8
	v_add_f32_e32 v122, v5, v10
	v_cndmask_b32_e64 v5, -v24, v24, s18
	v_add_f32_e32 v121, v8, v17
	v_cndmask_b32_e64 v8, -v124, v124, s18
	ds_bpermute_b32 v17, v3, v129
	s_wait_dscnt 0x7
	v_add_f32_e32 v53, v9, v18
	v_cndmask_b32_e64 v9, -v131, v131, s18
	v_add_f32_e32 v123, v6, v12
	v_cndmask_b32_e64 v6, -v126, v126, s18
	ds_bpermute_b32 v18, v3, v152
	s_wait_dscnt 0x7
	v_add_f32_e32 v124, v7, v14
	v_cndmask_b32_e64 v7, -v127, v127, s18
	ds_bpermute_b32 v10, v3, v25
	s_wait_dscnt 0x6
	v_add_f32_e32 v127, v6, v13
	ds_bpermute_b32 v13, v3, v35
	v_add_f32_e32 v125, v8, v16
	ds_bpermute_b32 v16, v3, v151
	v_cndmask_b32_e64 v8, -v129, v129, s18
	s_wait_dscnt 0x7
	v_add_f32_e32 v54, v9, v19
	v_cndmask_b32_e64 v9, -v152, v152, s18
	ds_bpermute_b32 v12, v3, v149
	ds_bpermute_b32 v19, v3, v29
	;; [unrolled: 1-line block ×3, first 2 shown]
	s_wait_dscnt 0x9
	v_add_f32_e32 v126, v5, v11
	v_cndmask_b32_e64 v5, -v25, v25, s18
	v_cndmask_b32_e64 v6, -v149, v149, s18
	ds_bpermute_b32 v11, v3, v27
	s_wait_dscnt 0x7
	v_add_f32_e32 v55, v9, v18
	v_cndmask_b32_e64 v18, -v29, v29, s18
	v_add_f32_e32 v131, v8, v17
	v_cndmask_b32_e64 v8, -v151, v151, s18
	ds_bpermute_b32 v17, v3, v28
	ds_bpermute_b32 v9, v3, v179
	s_wait_dscnt 0x6
	v_add_f32_e32 v152, v8, v16
	ds_bpermute_b32 v8, v3, v2
	v_cndmask_b32_e64 v16, -v28, v28, s18
	v_add_f32_e32 v129, v7, v15
	ds_bpermute_b32 v15, v3, v56
	v_cndmask_b32_e64 v2, -v2, v2, s18
	;; [unrolled: 3-line block ×3, first 2 shown]
	s_wait_dscnt 0x8
	v_add_f32_e32 v150, v6, v12
	v_cndmask_b32_e64 v6, -v35, v35, s18
	v_cndmask_b32_e64 v5, -v27, v27, s18
	ds_bpermute_b32 v12, v3, v177
	s_wait_dscnt 0x8
	v_add_f32_e32 v40, v18, v19
	v_add_f32_e32 v174, v6, v13
	v_cndmask_b32_e64 v6, -v180, v180, s18
	ds_bpermute_b32 v13, v3, v155
	s_wait_dscnt 0x8
	v_add_f32_e32 v151, v7, v14
	v_cndmask_b32_e64 v7, -v56, v56, s18
	ds_bpermute_b32 v14, v3, v181
	s_wait_dscnt 0x5
	v_add_f32_e32 v56, v2, v8
	v_xor_b32_e32 v2, 16, v1
	v_add_f32_e32 v173, v5, v11
	v_cndmask_b32_e64 v5, -v179, v179, s18
	ds_bpermute_b32 v11, v3, v154
	v_add_f32_e32 v176, v16, v17
	s_wait_dscnt 0x4
	v_add_f32_e32 v58, v6, v10
	ds_bpermute_b32 v10, v3, v170
	v_add_f32_e32 v175, v7, v15
	ds_bpermute_b32 v7, v3, v153
	v_cmp_gt_i32_e64 s19, 32, v2
	v_cndmask_b32_e64 v15, -v177, v177, s18
	v_cndmask_b32_e64 v16, -v181, v181, s18
	v_add_f32_e32 v57, v5, v9
	v_cndmask_b32_e64 v5, -v153, v153, s18
	s_wait_alu 0xf1ff
	v_cndmask_b32_e64 v1, v1, v2, s19
	v_cndmask_b32_e64 v8, -v155, v155, s18
	v_cndmask_b32_e64 v6, -v154, v154, s18
	;; [unrolled: 1-line block ×3, first 2 shown]
	s_wait_dscnt 0x3
	v_dual_add_f32 v60, v16, v14 :: v_dual_lshlrev_b32 v153, 2, v1
	v_add_f32_e32 v62, v8, v13
	v_cndmask_b32_e64 v1, -v170, v170, s18
	ds_bpermute_b32 v9, v3, v178
	ds_bpermute_b32 v8, v153, v26
	;; [unrolled: 1-line block ×3, first 2 shown]
	v_add_f32_e32 v59, v15, v12
	ds_bpermute_b32 v12, v3, v171
	ds_bpermute_b32 v15, v153, v156
	s_wait_dscnt 0x5
	v_add_f32_e32 v177, v5, v7
	v_and_b32_e32 v7, 16, v0
	ds_bpermute_b32 v19, v153, v160
	v_cndmask_b32_e64 v5, -v171, v171, s18
	ds_bpermute_b32 v17, v153, v158
	v_add_f32_e32 v61, v6, v11
	v_cndmask_b32_e64 v6, -v172, v172, s18
	v_cmp_eq_u32_e64 s18, 0, v7
	v_add_f32_e32 v154, v1, v10
	ds_bpermute_b32 v3, v3, v172
	s_wait_alu 0xf1ff
	v_cndmask_b32_e64 v1, -v26, v26, s18
	v_cndmask_b32_e64 v10, -v156, v156, s18
	s_wait_dscnt 0x7
	v_add_f32_e32 v171, v2, v9
	v_cndmask_b32_e64 v2, -v133, v133, s18
	v_cndmask_b32_e64 v9, -v148, v148, s18
	s_wait_dscnt 0x4
	v_add_f32_e32 v155, v5, v12
	v_add_f32_e32 v5, v1, v8
	s_wait_dscnt 0x3
	v_add_f32_e32 v1, v10, v15
	v_cndmask_b32_e64 v10, -v160, v160, s18
	v_add_f32_e32 v8, v9, v14
	v_cndmask_b32_e64 v9, -v159, v159, s18
	s_wait_dscnt 0x2
	s_delay_alu instid0(VALU_DEP_3)
	v_add_f32_e32 v10, v10, v19
	ds_bpermute_b32 v11, v153, v133
	ds_bpermute_b32 v13, v153, v147
	s_wait_dscnt 0x2
	v_add_f32_e32 v170, v6, v3
	v_cndmask_b32_e64 v3, -v147, v147, s18
	ds_bpermute_b32 v12, v153, v4
	ds_bpermute_b32 v16, v153, v157
	ds_bpermute_b32 v23, v153, v166
	ds_bpermute_b32 v21, v153, v31
	ds_bpermute_b32 v18, v153, v159
	ds_bpermute_b32 v14, v153, v162
	ds_bpermute_b32 v15, v153, v163
	ds_bpermute_b32 v20, v153, v164
	ds_bpermute_b32 v22, v153, v165
	ds_bpermute_b32 v27, v153, v63
	ds_bpermute_b32 v24, v153, v167
	ds_bpermute_b32 v25, v153, v168
	ds_bpermute_b32 v26, v153, v32
	ds_bpermute_b32 v28, v153, v64
	ds_bpermute_b32 v29, v153, v65
	v_cndmask_b32_e64 v19, -v164, v164, s18
	s_wait_dscnt 0xf
	v_dual_add_f32 v6, v2, v11 :: v_dual_add_f32 v7, v3, v13
	ds_bpermute_b32 v11, v153, v30
	ds_bpermute_b32 v13, v153, v161
	v_cndmask_b32_e64 v2, -v4, v4, s18
	v_cndmask_b32_e64 v3, -v157, v157, s18
	v_cndmask_b32_e64 v4, -v158, v158, s18
	ds_bpermute_b32 v35, v153, v66
	s_wait_dscnt 0xd
	v_dual_add_f32 v9, v9, v18 :: v_dual_add_f32 v2, v2, v12
	v_add_f32_e32 v3, v3, v16
	v_cndmask_b32_e64 v12, -v30, v30, s18
	v_cndmask_b32_e64 v16, -v161, v161, s18
	v_add_f32_e32 v4, v4, v17
	v_cndmask_b32_e64 v17, -v162, v162, s18
	ds_bpermute_b32 v30, v153, v169
	v_cndmask_b32_e64 v18, -v163, v163, s18
	ds_bpermute_b32 v128, v153, v89
	ds_bpermute_b32 v130, v153, v120
	;; [unrolled: 1-line block ×5, first 2 shown]
	s_wait_dscnt 0x8
	v_add_f32_e32 v11, v12, v11
	s_wait_dscnt 0x7
	v_add_f32_e32 v12, v16, v13
	v_cndmask_b32_e64 v16, -v31, v31, s18
	v_add_f32_e32 v13, v17, v14
	v_cndmask_b32_e64 v17, -v165, v165, s18
	v_dual_add_f32 v14, v18, v15 :: v_dual_add_f32 v15, v19, v20
	s_delay_alu instid0(VALU_DEP_4)
	v_add_f32_e32 v16, v16, v21
	v_cndmask_b32_e64 v21, -v32, v32, s18
	ds_bpermute_b32 v32, v153, v33
	v_cndmask_b32_e64 v18, -v166, v166, s18
	v_cndmask_b32_e64 v19, -v167, v167, s18
	;; [unrolled: 1-line block ×3, first 2 shown]
	v_add_f32_e32 v17, v17, v22
	v_cndmask_b32_e64 v22, -v63, v63, s18
	s_delay_alu instid0(VALU_DEP_4) | instskip(NEXT) | instid1(VALU_DEP_4)
	v_dual_add_f32 v18, v18, v23 :: v_dual_add_f32 v19, v19, v24
	v_add_f32_e32 v20, v20, v25
	v_cndmask_b32_e64 v23, -v64, v64, s18
	v_cndmask_b32_e64 v24, -v65, v65, s18
	;; [unrolled: 1-line block ×3, first 2 shown]
	ds_bpermute_b32 v63, v153, v67
	v_dual_add_f32 v25, v21, v26 :: v_dual_add_f32 v26, v22, v27
	v_cndmask_b32_e64 v22, -v33, v33, s18
	ds_bpermute_b32 v65, v153, v69
	s_wait_dscnt 0x8
	v_add_f32_e32 v21, v31, v30
	ds_bpermute_b32 v31, v153, v34
	ds_bpermute_b32 v33, v153, v70
	s_wait_dscnt 0x4
	v_add_f32_e32 v22, v22, v32
	v_cndmask_b32_e64 v32, -v34, v34, s18
	v_cndmask_b32_e64 v34, -v70, v70, s18
	ds_bpermute_b32 v70, v153, v75
	v_dual_add_f32 v27, v23, v28 :: v_dual_add_f32 v28, v24, v29
	v_cndmask_b32_e64 v24, -v67, v67, s18
	ds_bpermute_b32 v67, v153, v72
	v_cndmask_b32_e64 v23, -v66, v66, s18
	v_cndmask_b32_e64 v30, -v69, v69, s18
	ds_bpermute_b32 v66, v153, v71
	ds_bpermute_b32 v64, v153, v68
	s_wait_dscnt 0x7
	v_add_f32_e32 v24, v24, v63
	v_cndmask_b32_e64 v63, -v72, v72, s18
	ds_bpermute_b32 v72, v153, v77
	v_cndmask_b32_e64 v29, -v68, v68, s18
	s_wait_dscnt 0x7
	v_add_f32_e32 v30, v30, v65
	ds_bpermute_b32 v65, v153, v36
	s_wait_dscnt 0x6
	v_dual_add_f32 v31, v32, v31 :: v_dual_add_f32 v32, v34, v33
	ds_bpermute_b32 v68, v153, v73
	v_cndmask_b32_e64 v36, -v36, v36, s18
	ds_bpermute_b32 v69, v153, v74
	v_cndmask_b32_e64 v57, -v57, v57, s18
	;; [unrolled: 2-line block ×3, first 2 shown]
	ds_bpermute_b32 v135, v153, v56
	s_wait_dscnt 0x8
	v_add_f32_e32 v34, v63, v67
	v_cndmask_b32_e64 v67, -v77, v77, s18
	ds_bpermute_b32 v77, v153, v42
	v_add_f32_e32 v23, v23, v35
	v_cndmask_b32_e64 v35, -v71, v71, s18
	ds_bpermute_b32 v71, v153, v76
	v_cndmask_b32_e64 v63, -v74, v74, s18
	ds_bpermute_b32 v74, v153, v79
	ds_bpermute_b32 v137, v153, v58
	s_wait_dscnt 0xb
	v_add_f32_e32 v33, v35, v66
	v_cndmask_b32_e64 v66, -v76, v76, s18
	s_wait_dscnt 0x8
	v_add_f32_e32 v36, v36, v65
	ds_bpermute_b32 v76, v153, v81
	ds_bpermute_b32 v134, v153, v176
	v_cndmask_b32_e64 v58, -v58, v58, s18
	s_wait_dscnt 0x8
	v_add_f32_e32 v63, v63, v69
	v_cndmask_b32_e64 v69, -v78, v78, s18
	ds_bpermute_b32 v139, v153, v171
	ds_bpermute_b32 v140, v153, v170
	s_wait_dscnt 0x6
	v_add_f32_e32 v65, v66, v71
	v_cndmask_b32_e64 v71, -v80, v80, s18
	v_add_f32_e32 v29, v29, v64
	v_cndmask_b32_e64 v64, -v73, v73, s18
	ds_bpermute_b32 v73, v153, v78
	v_add_f32_e32 v66, v67, v72
	v_cndmask_b32_e64 v72, -v81, v81, s18
	ds_bpermute_b32 v81, v153, v85
	;; [unrolled: 3-line block ×3, first 2 shown]
	ds_bpermute_b32 v75, v153, v80
	v_cndmask_b32_e64 v41, -v41, v41, s18
	ds_bpermute_b32 v78, v153, v82
	v_add_f32_e32 v64, v64, v70
	v_cndmask_b32_e64 v70, -v79, v79, s18
	ds_bpermute_b32 v79, v153, v83
	ds_bpermute_b32 v80, v153, v84
	s_wait_dscnt 0x4
	v_add_f32_e32 v67, v41, v68
	v_dual_add_f32 v68, v69, v73 :: v_dual_add_f32 v69, v70, v74
	s_wait_dscnt 0x3
	v_dual_add_f32 v70, v71, v75 :: v_dual_add_f32 v71, v72, v76
	v_cndmask_b32_e64 v41, -v42, v42, s18
	v_cndmask_b32_e64 v42, -v82, v82, s18
	;; [unrolled: 1-line block ×4, first 2 shown]
	ds_bpermute_b32 v82, v153, v43
	v_cndmask_b32_e64 v75, -v84, v84, s18
	ds_bpermute_b32 v84, v153, v87
	ds_bpermute_b32 v85, v153, v88
	s_wait_dscnt 0x4
	v_add_f32_e32 v74, v74, v79
	v_add_f32_e32 v76, v76, v81
	v_cndmask_b32_e64 v79, -v88, v88, s18
	ds_bpermute_b32 v81, v153, v44
	ds_bpermute_b32 v88, v153, v92
	;; [unrolled: 1-line block ×3, first 2 shown]
	v_add_f32_e32 v72, v41, v77
	v_cndmask_b32_e64 v41, -v43, v43, s18
	s_wait_dscnt 0x6
	v_add_f32_e32 v75, v75, v80
	v_cndmask_b32_e64 v43, -v87, v87, s18
	v_cndmask_b32_e64 v80, -v89, v89, s18
	;; [unrolled: 1-line block ×3, first 2 shown]
	ds_bpermute_b32 v87, v153, v91
	ds_bpermute_b32 v89, v153, v93
	s_wait_dscnt 0x7
	v_add_f32_e32 v77, v41, v82
	v_cndmask_b32_e64 v82, -v92, v92, s18
	s_wait_dscnt 0x6
	v_add_f32_e32 v41, v43, v84
	v_add_f32_e32 v43, v80, v128
	v_cndmask_b32_e64 v80, -v91, v91, s18
	ds_bpermute_b32 v91, v153, v96
	ds_bpermute_b32 v84, v153, v45
	s_wait_dscnt 0x5
	v_dual_add_f32 v44, v44, v81 :: v_dual_add_f32 v81, v82, v88
	v_cndmask_b32_e64 v88, -v96, v96, s18
	v_add_f32_e32 v73, v42, v78
	v_cndmask_b32_e64 v42, -v86, v86, s18
	ds_bpermute_b32 v86, v153, v90
	v_cndmask_b32_e64 v45, -v45, v45, s18
	ds_bpermute_b32 v92, v153, v97
	ds_bpermute_b32 v96, v153, v100
	s_wait_dscnt 0x7
	v_add_f32_e32 v78, v42, v83
	v_add_f32_e32 v42, v79, v85
	ds_bpermute_b32 v85, v153, v94
	v_cndmask_b32_e64 v79, -v90, v90, s18
	v_cndmask_b32_e64 v83, -v93, v93, s18
	ds_bpermute_b32 v93, v153, v46
	ds_bpermute_b32 v90, v153, v95
	s_wait_dscnt 0x9
	v_add_f32_e32 v80, v80, v87
	v_cndmask_b32_e64 v87, -v95, v95, s18
	s_wait_dscnt 0x6
	v_dual_add_f32 v82, v83, v89 :: v_dual_add_f32 v83, v45, v84
	v_cndmask_b32_e64 v45, -v46, v46, s18
	v_cndmask_b32_e64 v46, -v98, v98, s18
	ds_bpermute_b32 v95, v153, v99
	v_cndmask_b32_e64 v89, -v97, v97, s18
	ds_bpermute_b32 v97, v153, v101
	s_wait_dscnt 0x7
	v_add_f32_e32 v79, v79, v86
	v_cndmask_b32_e64 v86, -v94, v94, s18
	ds_bpermute_b32 v94, v153, v98
	ds_bpermute_b32 v98, v153, v47
	;; [unrolled: 1-line block ×3, first 2 shown]
	s_wait_dscnt 0x7
	v_add_f32_e32 v84, v86, v85
	v_add_f32_e32 v86, v88, v91
	v_cndmask_b32_e64 v91, -v100, v100, s18
	ds_bpermute_b32 v100, v153, v103
	s_wait_dscnt 0x7
	v_add_f32_e32 v88, v45, v93
	v_cndmask_b32_e64 v45, -v47, v47, s18
	v_cndmask_b32_e64 v47, -v103, v103, s18
	v_add_f32_e32 v91, v91, v96
	v_cndmask_b32_e64 v96, -v105, v105, s18
	ds_bpermute_b32 v105, v153, v109
	ds_bpermute_b32 v103, v153, v107
	s_wait_dscnt 0x4
	v_add_f32_e32 v93, v45, v98
	s_wait_dscnt 0x2
	v_add_f32_e32 v45, v47, v100
	v_cndmask_b32_e64 v100, -v109, v109, s18
	v_add_f32_e32 v85, v87, v90
	v_add_f32_e32 v87, v89, v92
	v_cndmask_b32_e64 v90, -v99, v99, s18
	v_cndmask_b32_e64 v92, -v101, v101, s18
	ds_bpermute_b32 v99, v153, v102
	ds_bpermute_b32 v101, v153, v104
	v_add_f32_e32 v89, v46, v94
	v_add_f32_e32 v90, v90, v95
	v_cndmask_b32_e64 v95, -v104, v104, s18
	ds_bpermute_b32 v104, v153, v108
	v_add_f32_e32 v92, v92, v97
	v_cndmask_b32_e64 v46, -v102, v102, s18
	ds_bpermute_b32 v97, v153, v48
	ds_bpermute_b32 v102, v153, v106
	v_cndmask_b32_e64 v48, -v48, v48, s18
	ds_bpermute_b32 v109, v153, v113
	s_wait_dscnt 0x7
	v_add_f32_e32 v100, v100, v105
	v_cndmask_b32_e64 v105, -v113, v113, s18
	ds_bpermute_b32 v113, v153, v116
	s_wait_dscnt 0x6
	v_add_f32_e32 v94, v46, v99
	s_wait_dscnt 0x5
	v_add_f32_e32 v46, v95, v101
	v_cndmask_b32_e64 v95, -v106, v106, s18
	v_cndmask_b32_e64 v99, -v108, v108, s18
	ds_bpermute_b32 v106, v153, v110
	ds_bpermute_b32 v108, v153, v112
	;; [unrolled: 1-line block ×3, first 2 shown]
	v_cndmask_b32_e64 v49, -v49, v49, s18
	s_wait_dscnt 0x7
	v_add_f32_e32 v99, v99, v104
	v_cndmask_b32_e64 v104, -v112, v112, s18
	ds_bpermute_b32 v112, v153, v115
	s_wait_dscnt 0x6
	v_dual_add_f32 v48, v48, v97 :: v_dual_add_f32 v97, v95, v102
	v_cndmask_b32_e64 v95, -v110, v110, s18
	ds_bpermute_b32 v110, v153, v50
	s_wait_dscnt 0x4
	v_add_f32_e32 v102, v95, v106
	v_cndmask_b32_e64 v95, -v115, v115, s18
	s_wait_dscnt 0x3
	v_add_f32_e32 v104, v104, v108
	ds_bpermute_b32 v115, v153, v51
	s_wait_dscnt 0x2
	v_add_f32_e32 v108, v95, v112
	v_cndmask_b32_e64 v95, -v120, v120, s18
	v_add_f32_e32 v47, v96, v128
	v_cndmask_b32_e64 v96, -v107, v107, s18
	ds_bpermute_b32 v107, v153, v111
	ds_bpermute_b32 v128, v153, v117
	;; [unrolled: 1-line block ×3, first 2 shown]
	v_add_f32_e32 v98, v96, v103
	v_cndmask_b32_e64 v96, -v111, v111, s18
	ds_bpermute_b32 v111, v153, v114
	s_wait_dscnt 0x3
	v_add_f32_e32 v103, v96, v107
	v_cndmask_b32_e64 v96, -v116, v116, s18
	ds_bpermute_b32 v116, v153, v118
	v_add_f32_e32 v101, v49, v101
	v_cndmask_b32_e64 v49, -v50, v50, s18
	v_cndmask_b32_e64 v50, -v114, v114, s18
	;; [unrolled: 1-line block ×3, first 2 shown]
	ds_bpermute_b32 v117, v153, v119
	s_wait_dscnt 0x2
	v_dual_add_f32 v106, v49, v110 :: v_dual_add_f32 v107, v50, v111
	v_cndmask_b32_e64 v50, -v118, v118, s18
	v_add_f32_e32 v110, v114, v128
	v_cndmask_b32_e64 v49, -v51, v51, s18
	v_cndmask_b32_e64 v51, -v119, v119, s18
	ds_bpermute_b32 v128, v153, v150
	ds_bpermute_b32 v114, v153, v122
	;; [unrolled: 1-line block ×3, first 2 shown]
	v_add_f32_e32 v111, v49, v115
	ds_bpermute_b32 v119, v153, v124
	v_cndmask_b32_e64 v115, -v124, v124, s18
	ds_bpermute_b32 v124, v153, v131
	s_wait_dscnt 0x6
	v_add_f32_e32 v112, v50, v116
	v_cndmask_b32_e64 v116, -v125, v125, s18
	v_add_f32_e32 v105, v105, v109
	v_add_f32_e32 v109, v96, v113
	v_cndmask_b32_e64 v96, -v121, v121, s18
	ds_bpermute_b32 v113, v153, v52
	v_add_f32_e32 v50, v95, v130
	v_add_f32_e32 v116, v116, v120
	v_cndmask_b32_e64 v120, -v129, v129, s18
	s_wait_dscnt 0x6
	v_add_f32_e32 v49, v51, v117
	ds_bpermute_b32 v130, v153, v152
	v_add_f32_e32 v51, v96, v132
	v_cndmask_b32_e64 v96, -v123, v123, s18
	ds_bpermute_b32 v123, v153, v129
	ds_bpermute_b32 v121, v153, v126
	v_cndmask_b32_e64 v95, -v122, v122, s18
	ds_bpermute_b32 v122, v153, v127
	v_cndmask_b32_e64 v52, -v52, v52, s18
	;; [unrolled: 2-line block ×3, first 2 shown]
	v_cndmask_b32_e64 v125, -v131, v131, s18
	ds_bpermute_b32 v129, v153, v151
	s_wait_dscnt 0x6
	v_add_f32_e32 v52, v52, v113
	s_wait_dscnt 0x4
	v_add_f32_e32 v120, v120, v123
	ds_bpermute_b32 v123, v153, v173
	v_add_f32_e32 v113, v95, v114
	v_cndmask_b32_e64 v95, -v126, v126, s18
	v_add_f32_e32 v114, v96, v118
	v_cndmask_b32_e64 v96, -v127, v127, s18
	ds_bpermute_b32 v126, v153, v54
	ds_bpermute_b32 v127, v153, v149
	s_wait_dscnt 0x6
	v_add_f32_e32 v118, v95, v121
	v_cndmask_b32_e64 v121, -v152, v152, s18
	s_wait_dscnt 0x4
	v_add_f32_e32 v117, v53, v117
	v_cndmask_b32_e64 v53, -v54, v54, s18
	v_cndmask_b32_e64 v54, -v149, v149, s18
	;; [unrolled: 1-line block ×3, first 2 shown]
	v_add_f32_e32 v130, v121, v130
	ds_bpermute_b32 v121, v153, v40
	v_cndmask_b32_e64 v40, -v40, v40, s18
	v_add_f32_e32 v115, v115, v119
	v_add_f32_e32 v119, v96, v122
	ds_bpermute_b32 v122, v153, v55
	v_add_f32_e32 v128, v95, v128
	v_cndmask_b32_e64 v95, -v175, v175, s18
	v_cndmask_b32_e64 v96, -v151, v151, s18
	s_wait_dscnt 0x3
	v_add_f32_e32 v126, v53, v126
	v_cndmask_b32_e64 v53, -v55, v55, s18
	s_wait_dscnt 0x2
	v_add_f32_e32 v127, v54, v127
	v_cndmask_b32_e64 v54, -v173, v173, s18
	v_cndmask_b32_e64 v55, -v174, v174, s18
	s_delay_alu instid0(VALU_DEP_2)
	v_add_f32_e32 v132, v54, v123
	v_add_f32_e32 v54, v95, v133
	ds_bpermute_b32 v95, v153, v60
	ds_bpermute_b32 v123, v153, v61
	s_wait_dscnt 0x2
	v_add_f32_e32 v131, v53, v122
	v_cndmask_b32_e64 v122, -v56, v56, s18
	v_add_f32_e32 v56, v40, v121
	ds_bpermute_b32 v121, v153, v154
	v_add_f32_e32 v125, v125, v124
	ds_bpermute_b32 v124, v153, v174
	v_add_f32_e32 v133, v122, v135
	v_add_f32_e32 v135, v58, v137
	v_cndmask_b32_e64 v58, -v177, v177, s18
	v_add_f32_e32 v129, v96, v129
	v_cndmask_b32_e64 v96, -v176, v176, s18
	v_cndmask_b32_e64 v40, -v60, v60, s18
	ds_bpermute_b32 v122, v153, v155
	v_cndmask_b32_e64 v60, -v62, v62, s18
	s_wait_dscnt 0x1
	v_add_f32_e32 v53, v55, v124
	v_add_f32_e32 v55, v96, v134
	ds_bpermute_b32 v96, v153, v177
	ds_bpermute_b32 v124, v153, v62
	v_dual_add_f32 v134, v57, v136 :: v_dual_add_f32 v57, v40, v95
	v_cndmask_b32_e64 v40, -v61, v61, s18
	v_cndmask_b32_e64 v61, -v171, v171, s18
	v_and_b32_e32 v62, 7, v0
	v_lshrrev_b32_e32 v95, 3, v0
	s_delay_alu instid0(VALU_DEP_4) | instskip(NEXT) | instid1(VALU_DEP_4)
	v_dual_add_f32 v136, v59, v138 :: v_dual_add_f32 v59, v40, v123
	v_add_f32_e32 v137, v61, v139
	v_lshrrev_b32_e32 v40, 5, v0
	s_delay_alu instid0(VALU_DEP_4) | instskip(SKIP_2) | instid1(VALU_DEP_4)
	v_lshl_or_b32 v61, v62, 5, v95
	v_cndmask_b32_e64 v95, -v154, v154, s18
	v_cndmask_b32_e64 v123, -v170, v170, s18
	v_xor_b32_e32 v0, v40, v0
	s_delay_alu instid0(VALU_DEP_4) | instskip(NEXT) | instid1(VALU_DEP_4)
	v_xor_b32_e32 v40, v61, v62
	v_add_f32_e32 v138, v95, v121
	s_delay_alu instid0(VALU_DEP_4)
	v_add_f32_e32 v140, v123, v140
	s_wait_dscnt 0x1
	v_add_f32_e32 v58, v58, v96
	v_cndmask_b32_e64 v96, -v155, v155, s18
	s_wait_dscnt 0x0
	v_add_f32_e32 v60, v60, v124
	v_lshl_add_u32 v124, v0, 4, 0
	ds_store_b128 v124, v[5:8]
	ds_store_b128 v124, v[1:4] offset:4096
	ds_store_b128 v124, v[9:12] offset:8192
	;; [unrolled: 1-line block ×7, first 2 shown]
	v_add_f32_e32 v139, v96, v122
	v_lshl_add_u32 v96, v40, 4, 0
	s_wait_loadcnt_dscnt 0x0
	s_barrier_signal -1
	s_barrier_wait -1
	global_inv scope:SCOPE_SE
	ds_load_b128 v[141:144], v96
	ds_load_b128 v[147:150], v96 offset:4096
	ds_load_b128 v[151:154], v96 offset:8192
	;; [unrolled: 1-line block ×7, first 2 shown]
	s_wait_loadcnt_dscnt 0x0
	s_barrier_signal -1
	s_barrier_wait -1
	global_inv scope:SCOPE_SE
	ds_store_b128 v124, v[33:36]
	ds_store_b128 v124, v[63:66] offset:4096
	ds_store_b128 v124, v[67:70] offset:8192
	;; [unrolled: 1-line block ×7, first 2 shown]
	s_wait_loadcnt_dscnt 0x0
	s_barrier_signal -1
	s_barrier_wait -1
	global_inv scope:SCOPE_SE
	ds_load_b128 v[61:64], v96
	ds_load_b128 v[65:68], v96 offset:4096
	ds_load_b128 v[69:72], v96 offset:8192
	;; [unrolled: 1-line block ×7, first 2 shown]
	s_wait_loadcnt_dscnt 0x0
	s_barrier_signal -1
	ds_bpermute_b32 v32, v37, v141
	ds_bpermute_b32 v34, v37, v142
	;; [unrolled: 1-line block ×5, first 2 shown]
	v_cndmask_b32_e64 v33, -v141, v141, s1
	ds_bpermute_b32 v36, v37, v144
	s_barrier_wait -1
	s_wait_dscnt 0x0
	global_inv scope:SCOPE_SE
	ds_store_b128 v124, v[87:90]
	ds_store_b128 v124, v[91:94] offset:4096
	ds_store_b128 v124, v[45:48] offset:8192
	;; [unrolled: 1-line block ×7, first 2 shown]
	v_cndmask_b32_e64 v42, -v143, v143, s1
	v_cndmask_b32_e64 v44, -v147, v147, s1
	;; [unrolled: 1-line block ×3, first 2 shown]
	ds_bpermute_b32 v46, v37, v149
	ds_bpermute_b32 v47, v37, v150
	;; [unrolled: 1-line block ×5, first 2 shown]
	s_wait_loadcnt_dscnt 0x0
	s_barrier_signal -1
	v_add_f32_e32 v32, v33, v32
	v_cndmask_b32_e64 v33, -v142, v142, s1
	s_barrier_wait -1
	global_inv scope:SCOPE_SE
	ds_load_b128 v[85:88], v96
	ds_load_b128 v[183:186], v96 offset:4096
	ds_load_b128 v[187:190], v96 offset:8192
	;; [unrolled: 1-line block ×7, first 2 shown]
	s_wait_loadcnt_dscnt 0x0
	s_barrier_signal -1
	s_barrier_wait -1
	global_inv scope:SCOPE_SE
	v_dual_add_f32 v89, v33, v34 :: v_dual_add_f32 v90, v42, v35
	v_add_f32_e32 v34, v44, v40
	ds_store_b128 v124, v[113:116]
	ds_store_b128 v124, v[117:120] offset:4096
	ds_store_b128 v124, v[125:128] offset:8192
	;; [unrolled: 1-line block ×5, first 2 shown]
	ds_bpermute_b32 v44, v37, v154
	ds_bpermute_b32 v51, v37, v156
	;; [unrolled: 1-line block ×4, first 2 shown]
	v_add_f32_e32 v35, v45, v41
	ds_bpermute_b32 v45, v37, v155
	v_cndmask_b32_e64 v43, -v144, v144, s1
	v_cndmask_b32_e64 v40, -v150, v150, s1
	v_cndmask_b32_e64 v41, -v151, v151, s1
	v_cndmask_b32_e64 v42, -v152, v152, s1
	ds_bpermute_b32 v52, v37, v157
	v_add_f32_e32 v33, v43, v36
	v_cndmask_b32_e64 v36, -v149, v149, s1
	v_cndmask_b32_e64 v43, -v153, v153, s1
	v_add_f32_e32 v92, v40, v47
	v_add_f32_e32 v40, v42, v49
	v_cndmask_b32_e64 v42, -v154, v154, s1
	v_dual_add_f32 v91, v36, v46 :: v_dual_add_f32 v36, v41, v48
	v_add_f32_e32 v41, v43, v50
	v_cndmask_b32_e64 v43, -v155, v155, s1
	v_cndmask_b32_e64 v46, -v156, v156, s1
	;; [unrolled: 1-line block ×3, first 2 shown]
	ds_bpermute_b32 v49, v37, v159
	ds_bpermute_b32 v54, v37, v161
	;; [unrolled: 1-line block ×4, first 2 shown]
	s_wait_dscnt 0x5
	v_dual_add_f32 v93, v42, v44 :: v_dual_add_f32 v94, v43, v45
	v_add_f32_e32 v42, v46, v51
	ds_store_b128 v124, v[57:60] offset:24576
	ds_store_b128 v124, v[137:140] offset:28672
	v_add_f32_e32 v44, v48, v53
	ds_bpermute_b32 v53, v37, v165
	ds_bpermute_b32 v58, v37, v167
	v_cndmask_b32_e64 v47, -v157, v157, s1
	v_cndmask_b32_e64 v45, -v159, v159, s1
	;; [unrolled: 1-line block ×3, first 2 shown]
	ds_bpermute_b32 v57, v37, v166
	ds_bpermute_b32 v59, v37, v168
	s_wait_dscnt 0xa
	v_add_f32_e32 v43, v47, v52
	v_cndmask_b32_e64 v47, -v161, v161, s1
	ds_bpermute_b32 v52, v37, v164
	v_cndmask_b32_e64 v46, -v160, v160, s1
	v_cndmask_b32_e64 v48, -v162, v162, s1
	ds_bpermute_b32 v102, v37, v172
	s_wait_dscnt 0xb
	v_add_f32_e32 v95, v45, v49
	s_wait_dscnt 0xa
	v_add_f32_e32 v45, v47, v54
	;; [unrolled: 2-line block ×3, first 2 shown]
	v_cndmask_b32_e64 v49, -v165, v165, s1
	v_cndmask_b32_e64 v51, -v167, v167, s1
	ds_bpermute_b32 v56, v37, v170
	ds_bpermute_b32 v60, v37, v171
	;; [unrolled: 1-line block ×3, first 2 shown]
	s_wait_dscnt 0xb
	v_dual_add_f32 v97, v46, v50 :: v_dual_add_f32 v46, v48, v55
	ds_bpermute_b32 v55, v37, v169
	ds_bpermute_b32 v106, v37, v64
	s_wait_dscnt 0xa
	v_add_f32_e32 v99, v49, v53
	s_wait_dscnt 0x9
	v_add_f32_e32 v49, v51, v58
	ds_bpermute_b32 v58, v37, v174
	v_cndmask_b32_e64 v48, -v164, v164, s1
	v_cndmask_b32_e64 v50, -v166, v166, s1
	;; [unrolled: 1-line block ×3, first 2 shown]
	ds_bpermute_b32 v103, v37, v173
	ds_bpermute_b32 v105, v37, v63
	s_wait_dscnt 0x9
	v_add_f32_e32 v98, v48, v52
	v_add_f32_e32 v48, v50, v57
	;; [unrolled: 1-line block ×3, first 2 shown]
	v_cndmask_b32_e64 v52, -v170, v170, s1
	v_cndmask_b32_e64 v54, -v172, v172, s1
	ds_bpermute_b32 v59, v37, v61
	v_cndmask_b32_e64 v51, -v169, v169, s1
	v_cndmask_b32_e64 v53, -v171, v171, s1
	s_wait_dscnt 0x8
	v_dual_add_f32 v101, v52, v56 :: v_dual_add_f32 v52, v54, v102
	v_cndmask_b32_e64 v54, -v174, v174, s1
	v_cndmask_b32_e64 v57, -v173, v173, s1
	s_wait_dscnt 0x5
	v_add_f32_e32 v100, v51, v55
	v_cndmask_b32_e64 v56, -v62, v62, s1
	ds_bpermute_b32 v62, v37, v66
	s_wait_dscnt 0x4
	v_add_f32_e32 v102, v54, v58
	v_cndmask_b32_e64 v58, -v66, v66, s1
	ds_bpermute_b32 v66, v37, v70
	v_add_f32_e32 v51, v53, v60
	v_cndmask_b32_e64 v60, -v64, v64, s1
	v_cndmask_b32_e64 v55, -v61, v61, s1
	ds_bpermute_b32 v61, v37, v65
	ds_bpermute_b32 v64, v37, v68
	v_add_f32_e32 v54, v56, v104
	v_add_f32_e32 v56, v60, v106
	v_cndmask_b32_e64 v60, -v68, v68, s1
	ds_bpermute_b32 v68, v37, v72
	s_wait_dscnt 0x7
	v_add_f32_e32 v53, v57, v103
	v_cndmask_b32_e64 v57, -v63, v63, s1
	ds_bpermute_b32 v63, v37, v67
	ds_bpermute_b32 v107, v37, v69
	;; [unrolled: 1-line block ×3, first 2 shown]
	s_wait_dscnt 0x8
	v_add_f32_e32 v103, v55, v59
	v_add_f32_e32 v55, v57, v105
	v_cndmask_b32_e64 v57, -v65, v65, s1
	v_cndmask_b32_e64 v59, -v67, v67, s1
	;; [unrolled: 1-line block ×3, first 2 shown]
	ds_bpermute_b32 v67, v37, v71
	ds_bpermute_b32 v69, v37, v73
	;; [unrolled: 1-line block ×4, first 2 shown]
	s_wait_dscnt 0x9
	v_add_f32_e32 v104, v57, v61
	v_cndmask_b32_e64 v61, -v71, v71, s1
	ds_bpermute_b32 v71, v37, v77
	ds_bpermute_b32 v123, v37, v194
	;; [unrolled: 1-line block ×6, first 2 shown]
	s_wait_dscnt 0xc
	v_add_f32_e32 v57, v59, v63
	v_cndmask_b32_e64 v63, -v73, v73, s1
	s_wait_dscnt 0xb
	v_add_f32_e32 v59, v65, v107
	ds_bpermute_b32 v65, v37, v75
	ds_bpermute_b32 v73, v37, v79
	s_wait_loadcnt_dscnt 0x0
	s_barrier_signal -1
	s_barrier_wait -1
	v_add_f32_e32 v107, v61, v67
	v_add_f32_e32 v61, v63, v69
	v_cndmask_b32_e64 v63, -v75, v75, s1
	ds_bpermute_b32 v75, v37, v82
	v_dual_add_f32 v105, v58, v62 :: v_dual_add_f32 v58, v60, v64
	v_cndmask_b32_e64 v60, -v70, v70, s1
	v_cndmask_b32_e64 v62, -v72, v72, s1
	ds_bpermute_b32 v70, v37, v76
	ds_bpermute_b32 v72, v37, v78
	v_cndmask_b32_e64 v64, -v74, v74, s1
	v_add_f32_e32 v106, v60, v66
	v_add_f32_e32 v60, v62, v68
	v_cndmask_b32_e64 v66, -v77, v77, s1
	v_cndmask_b32_e64 v67, -v78, v78, s1
	v_add_f32_e32 v62, v64, v108
	v_cndmask_b32_e64 v64, -v76, v76, s1
	ds_bpermute_b32 v69, v37, v80
	ds_bpermute_b32 v74, v37, v81
	;; [unrolled: 1-line block ×4, first 2 shown]
	v_cndmask_b32_e64 v68, -v79, v79, s1
	v_dual_add_f32 v108, v63, v65 :: v_dual_add_f32 v63, v66, v71
	v_cndmask_b32_e64 v66, -v80, v80, s1
	ds_bpermute_b32 v78, v37, v177
	ds_bpermute_b32 v79, v37, v178
	;; [unrolled: 1-line block ×3, first 2 shown]
	s_wait_dscnt 0x7
	v_dual_add_f32 v109, v64, v70 :: v_dual_add_f32 v64, v67, v72
	ds_bpermute_b32 v72, v37, v175
	v_cndmask_b32_e64 v67, -v81, v81, s1
	v_cndmask_b32_e64 v70, -v83, v83, s1
	;; [unrolled: 1-line block ×3, first 2 shown]
	ds_bpermute_b32 v83, v37, v86
	v_add_f32_e32 v65, v68, v73
	v_cndmask_b32_e64 v68, -v82, v82, s1
	s_wait_dscnt 0x8
	v_add_f32_e32 v110, v66, v69
	v_cndmask_b32_e64 v69, -v175, v175, s1
	ds_bpermute_b32 v81, v37, v182
	s_wait_dscnt 0x8
	v_dual_add_f32 v111, v67, v74 :: v_dual_add_f32 v66, v68, v75
	s_wait_dscnt 0x6
	v_dual_add_f32 v67, v70, v76 :: v_dual_add_f32 v68, v71, v77
	v_cndmask_b32_e64 v71, -v177, v177, s1
	v_cndmask_b32_e64 v75, -v179, v179, s1
	ds_bpermute_b32 v76, v37, v180
	ds_bpermute_b32 v73, v37, v176
	v_cndmask_b32_e64 v70, -v176, v176, s1
	v_cndmask_b32_e64 v74, -v178, v178, s1
	s_wait_dscnt 0x4
	v_dual_add_f32 v112, v69, v72 :: v_dual_add_f32 v69, v71, v78
	v_add_f32_e32 v71, v75, v80
	ds_bpermute_b32 v80, v37, v88
	v_cndmask_b32_e64 v72, -v180, v180, s1
	ds_bpermute_b32 v77, v37, v181
	ds_bpermute_b32 v82, v37, v85
	v_cndmask_b32_e64 v75, -v85, v85, s1
	ds_bpermute_b32 v85, v37, v184
	v_cndmask_b32_e64 v78, -v86, v86, s1
	ds_bpermute_b32 v84, v37, v183
	ds_bpermute_b32 v86, v37, v185
	s_wait_dscnt 0x0
	global_inv scope:SCOPE_SE
	ds_load_b128 v[130:133], v96
	ds_load_b128 v[134:137], v96 offset:4096
	ds_load_b128 v[20:23], v96 offset:8192
	;; [unrolled: 1-line block ×3, first 2 shown]
	ds_bpermute_b32 v126, v37, v197
	ds_bpermute_b32 v128, v37, v199
	v_add_f32_e32 v114, v72, v76
	v_cndmask_b32_e64 v76, -v88, v88, s1
	ds_bpermute_b32 v88, v37, v189
	ds_bpermute_b32 v129, v37, v200
	;; [unrolled: 1-line block ×3, first 2 shown]
	v_cndmask_b32_e64 v30, -v30, v30, s1
	ds_bpermute_b32 v140, v37, v28
	v_add_f32_e32 v117, v76, v80
	v_cndmask_b32_e64 v80, -v188, v188, s1
	v_add_f32_e32 v113, v70, v73
	v_add_f32_e32 v70, v74, v79
	v_cndmask_b32_e64 v74, -v182, v182, s1
	ds_bpermute_b32 v79, v37, v87
	v_cndmask_b32_e64 v73, -v181, v181, s1
	v_cndmask_b32_e64 v28, -v28, v28, s1
	;; [unrolled: 1-line block ×3, first 2 shown]
	v_add_f32_e32 v72, v74, v81
	v_add_f32_e32 v74, v78, v83
	ds_bpermute_b32 v83, v37, v187
	v_cndmask_b32_e64 v78, -v184, v184, s1
	v_add_f32_e32 v115, v73, v77
	v_cndmask_b32_e64 v77, -v183, v183, s1
	v_cndmask_b32_e64 v81, -v185, v185, s1
	ds_bpermute_b32 v143, v37, v25
	v_add_f32_e32 v76, v78, v85
	ds_bpermute_b32 v85, v37, v191
	v_add_f32_e32 v73, v75, v82
	v_cndmask_b32_e64 v75, -v87, v87, s1
	ds_bpermute_b32 v82, v37, v186
	ds_bpermute_b32 v87, v37, v188
	v_cndmask_b32_e64 v78, -v186, v186, s1
	v_add_f32_e32 v30, v30, v142
	s_wait_dscnt 0x5
	v_dual_add_f32 v116, v75, v79 :: v_dual_add_f32 v75, v77, v84
	v_add_f32_e32 v77, v81, v86
	v_cndmask_b32_e64 v79, -v187, v187, s1
	v_cndmask_b32_e64 v81, -v189, v189, s1
	ds_bpermute_b32 v86, v37, v192
	v_cndmask_b32_e64 v84, -v190, v190, s1
	v_cndmask_b32_e64 v25, -v25, v25, s1
	s_wait_dscnt 0x5
	v_add_f32_e32 v119, v79, v83
	v_add_f32_e32 v79, v81, v88
	ds_bpermute_b32 v88, v37, v196
	v_cndmask_b32_e64 v81, -v191, v191, s1
	v_cndmask_b32_e64 v83, -v193, v193, s1
	ds_bpermute_b32 v142, v37, v137
	ds_bpermute_b32 v138, v37, v201
	;; [unrolled: 1-line block ×3, first 2 shown]
	s_wait_dscnt 0x6
	v_add_f32_e32 v118, v78, v82
	s_wait_dscnt 0x5
	v_add_f32_e32 v78, v80, v87
	v_add_f32_e32 v80, v84, v120
	v_cndmask_b32_e64 v82, -v192, v192, s1
	v_cndmask_b32_e64 v84, -v194, v194, s1
	;; [unrolled: 1-line block ×3, first 2 shown]
	v_dual_add_f32 v120, v81, v85 :: v_dual_add_f32 v81, v83, v122
	v_cndmask_b32_e64 v85, -v197, v197, s1
	s_wait_dscnt 0x4
	v_dual_add_f32 v121, v82, v86 :: v_dual_add_f32 v28, v28, v140
	v_dual_add_f32 v82, v84, v123 :: v_dual_add_f32 v83, v87, v125
	v_cndmask_b32_e64 v84, -v196, v196, s1
	v_cndmask_b32_e64 v86, -v198, v198, s1
	;; [unrolled: 1-line block ×3, first 2 shown]
	ds_bpermute_b32 v145, v37, v27
	s_wait_dscnt 0x4
	v_dual_add_f32 v29, v29, v141 :: v_dual_add_f32 v122, v84, v88
	v_add_f32_e32 v84, v86, v127
	v_cndmask_b32_e64 v88, -v202, v202, s1
	ds_bpermute_b32 v127, v37, v31
	v_cndmask_b32_e64 v27, -v27, v27, s1
	v_add_f32_e32 v123, v85, v126
	ds_bpermute_b32 v141, v37, v136
	v_add_f32_e32 v85, v87, v128
	ds_bpermute_b32 v128, v37, v24
	;; [unrolled: 2-line block ×3, first 2 shown]
	ds_bpermute_b32 v139, v37, v133
	v_cndmask_b32_e64 v125, -v200, v200, s1
	v_cndmask_b32_e64 v87, -v201, v201, s1
	;; [unrolled: 1-line block ×5, first 2 shown]
	s_wait_dscnt 0x7
	v_dual_add_f32 v86, v125, v129 :: v_dual_add_f32 v125, v87, v138
	ds_bpermute_b32 v87, v37, v130
	ds_load_b128 v[16:19], v96 offset:16384
	ds_load_b128 v[8:11], v96 offset:20480
	;; [unrolled: 1-line block ×4, first 2 shown]
	ds_bpermute_b32 v138, v37, v132
	ds_bpermute_b32 v140, v37, v134
	s_wait_dscnt 0xb
	v_add_f32_e32 v127, v31, v127
	v_cndmask_b32_e64 v31, -v131, v131, s1
	s_wait_loadcnt_dscnt 0x0
	s_barrier_signal -1
	s_barrier_wait -1
	v_dual_add_f32 v129, v24, v128 :: v_dual_add_f32 v24, v25, v143
	v_dual_add_f32 v25, v26, v144 :: v_dual_add_f32 v26, v27, v145
	v_cndmask_b32_e64 v27, -v130, v130, s1
	v_cndmask_b32_e64 v130, -v133, v133, s1
	v_add_f32_e32 v133, v31, v88
	v_cndmask_b32_e64 v128, -v132, v132, s1
	v_cndmask_b32_e64 v132, -v134, v134, s1
	ds_bpermute_b32 v134, v37, v135
	v_add_f32_e32 v31, v130, v139
	v_cndmask_b32_e64 v130, -v137, v137, s1
	ds_bpermute_b32 v137, v37, v23
	v_cndmask_b32_e64 v23, -v23, v23, s1
	v_cndmask_b32_e64 v88, -v135, v135, s1
	ds_bpermute_b32 v143, v37, v20
	ds_bpermute_b32 v144, v37, v21
	v_cndmask_b32_e64 v135, -v21, v21, s1
	ds_bpermute_b32 v139, v37, v13
	v_cndmask_b32_e64 v13, -v13, v13, s1
	s_wait_dscnt 0x0
	global_inv scope:SCOPE_SE
	v_add_f32_e32 v150, v23, v137
	ds_bpermute_b32 v23, v37, v9
	v_cndmask_b32_e64 v9, -v9, v9, s1
	ds_bpermute_b32 v137, v37, v11
	v_cndmask_b32_e64 v11, -v11, v11, s1
	s_wait_dscnt 0x1
	v_add_f32_e32 v154, v9, v23
	ds_bpermute_b32 v23, v37, v3
	v_cndmask_b32_e64 v3, -v3, v3, s1
	v_add_f32_e32 v147, v88, v134
	ds_bpermute_b32 v134, v37, v18
	v_cndmask_b32_e64 v18, -v18, v18, s1
	v_add_f32_e32 v131, v27, v87
	v_add_f32_e32 v27, v128, v138
	v_cndmask_b32_e64 v128, -v136, v136, s1
	ds_bpermute_b32 v136, v37, v22
	v_cndmask_b32_e64 v22, -v22, v22, s1
	v_add_f32_e32 v87, v132, v140
	v_cndmask_b32_e64 v132, -v20, v20, s1
	ds_bpermute_b32 v138, v37, v12
	v_add_f32_e32 v148, v128, v141
	ds_bpermute_b32 v128, v37, v15
	v_add_f32_e32 v20, v130, v142
	v_cndmask_b32_e64 v12, -v12, v12, s1
	ds_bpermute_b32 v130, v37, v16
	v_cndmask_b32_e64 v15, -v15, v15, s1
	v_add_f32_e32 v88, v135, v144
	ds_bpermute_b32 v135, v37, v19
	v_cndmask_b32_e64 v16, -v16, v16, s1
	v_cndmask_b32_e64 v19, -v19, v19, s1
	ds_bpermute_b32 v140, v37, v14
	s_wait_dscnt 0x7
	v_add_f32_e32 v156, v3, v23
	v_cndmask_b32_e64 v23, -v91, v91, s17
	v_cndmask_b32_e64 v14, -v14, v14, s1
	s_wait_dscnt 0x5
	v_add_f32_e32 v149, v22, v136
	ds_bpermute_b32 v22, v37, v8
	v_cndmask_b32_e64 v8, -v8, v8, s1
	ds_bpermute_b32 v136, v37, v10
	s_wait_dscnt 0x6
	v_add_f32_e32 v12, v12, v138
	ds_bpermute_b32 v138, v37, v4
	s_wait_dscnt 0x6
	v_add_f32_e32 v151, v15, v128
	ds_bpermute_b32 v128, v37, v6
	v_cndmask_b32_e64 v10, -v10, v10, s1
	s_wait_dscnt 0x6
	v_add_f32_e32 v152, v16, v130
	v_add_f32_e32 v16, v18, v134
	v_cndmask_b32_e64 v18, -v4, v4, s1
	ds_bpermute_b32 v134, v37, v1
	ds_bpermute_b32 v130, v37, v7
	v_cndmask_b32_e64 v6, -v6, v6, s1
	s_wait_dscnt 0x5
	v_dual_add_f32 v14, v14, v140 :: v_dual_add_f32 v153, v8, v22
	v_add_f32_e32 v8, v11, v137
	ds_bpermute_b32 v137, v39, v90
	v_add_f32_e32 v21, v132, v143
	ds_bpermute_b32 v132, v37, v17
	v_cndmask_b32_e64 v17, -v17, v17, s1
	v_cndmask_b32_e64 v11, -v0, v0, s1
	s_wait_dscnt 0x5
	v_add_f32_e32 v9, v18, v138
	v_cndmask_b32_e64 v18, -v1, v1, s1
	ds_bpermute_b32 v22, v37, v2
	v_add_f32_e32 v4, v10, v136
	v_cndmask_b32_e64 v10, -v7, v7, s1
	v_cndmask_b32_e64 v2, -v2, v2, s1
	ds_bpermute_b32 v136, v39, v89
	s_wait_dscnt 0x2
	v_add_f32_e32 v15, v17, v132
	ds_bpermute_b32 v132, v37, v0
	v_add_f32_e32 v0, v10, v130
	v_cndmask_b32_e64 v10, -v89, v89, s17
	ds_bpermute_b32 v89, v39, v91
	s_wait_dscnt 0x3
	v_add_f32_e32 v155, v2, v22
	ds_bpermute_b32 v91, v39, v41
	v_cndmask_b32_e64 v22, -v35, v35, s17
	s_wait_dscnt 0x3
	v_add_f32_e32 v3, v10, v136
	v_cndmask_b32_e64 v10, -v33, v33, s17
	s_wait_dscnt 0x2
	v_add_f32_e32 v1, v11, v132
	v_cndmask_b32_e64 v11, -v90, v90, s17
	ds_bpermute_b32 v90, v39, v92
	v_add_f32_e32 v17, v19, v135
	ds_bpermute_b32 v19, v37, v5
	ds_bpermute_b32 v135, v39, v32
	v_cndmask_b32_e64 v5, -v5, v5, s1
	v_add_f32_e32 v37, v6, v128
	v_cndmask_b32_e64 v6, -v32, v32, s17
	ds_bpermute_b32 v32, v39, v35
	ds_bpermute_b32 v35, v39, v40
	;; [unrolled: 1-line block ×3, first 2 shown]
	v_add_f32_e32 v13, v13, v139
	s_wait_dscnt 0x4
	v_add_f32_e32 v7, v5, v19
	ds_bpermute_b32 v19, v39, v34
	s_wait_dscnt 0x4
	v_add_f32_e32 v2, v6, v135
	v_add_f32_e32 v6, v11, v137
	v_cndmask_b32_e64 v11, -v34, v34, s17
	ds_bpermute_b32 v34, v39, v36
	s_wait_dscnt 0x1
	v_add_f32_e32 v158, v11, v19
	v_cndmask_b32_e64 v19, -v36, v36, s17
	v_add_f32_e32 v11, v23, v89
	v_cndmask_b32_e64 v23, -v41, v41, s17
	ds_bpermute_b32 v41, v39, v44
	ds_bpermute_b32 v36, v39, v42
	s_wait_dscnt 0x2
	v_add_f32_e32 v159, v19, v34
	v_cndmask_b32_e64 v34, -v44, v44, s17
	ds_bpermute_b32 v44, v39, v46
	v_add_f32_e32 v5, v18, v134
	ds_bpermute_b32 v18, v39, v33
	v_cndmask_b32_e64 v33, -v92, v92, s17
	ds_bpermute_b32 v92, v39, v93
	ds_bpermute_b32 v89, v39, v95
	v_add_f32_e32 v19, v23, v91
	ds_bpermute_b32 v91, v39, v47
	s_wait_dscnt 0x3
	v_add_f32_e32 v157, v10, v18
	v_add_f32_e32 v10, v22, v32
	v_cndmask_b32_e64 v22, -v40, v40, s17
	ds_bpermute_b32 v40, v39, v43
	v_add_f32_e32 v18, v33, v90
	v_cndmask_b32_e64 v32, -v93, v93, s17
	v_cndmask_b32_e64 v33, -v94, v94, s17
	ds_bpermute_b32 v90, v39, v97
	v_add_f32_e32 v160, v22, v35
	v_cndmask_b32_e64 v35, -v95, v95, s17
	s_wait_dscnt 0x4
	v_add_f32_e32 v22, v32, v92
	v_cndmask_b32_e64 v32, -v42, v42, s17
	v_cndmask_b32_e64 v42, -v97, v97, s17
	ds_bpermute_b32 v97, v39, v105
	v_add_f32_e32 v23, v33, v128
	v_cndmask_b32_e64 v33, -v43, v43, s17
	ds_bpermute_b32 v43, v39, v45
	v_add_f32_e32 v161, v32, v36
	v_cndmask_b32_e64 v36, -v46, v46, s17
	ds_bpermute_b32 v92, v39, v98
	ds_bpermute_b32 v95, v39, v101
	ds_bpermute_b32 v93, v39, v99
	v_add_f32_e32 v32, v34, v41
	s_wait_dscnt 0x6
	v_dual_add_f32 v162, v33, v40 :: v_dual_add_f32 v33, v35, v89
	v_cndmask_b32_e64 v35, -v45, v45, s17
	ds_bpermute_b32 v45, v39, v48
	v_add_f32_e32 v164, v36, v44
	ds_bpermute_b32 v44, v39, v51
	v_cndmask_b32_e64 v36, -v48, v48, s17
	ds_bpermute_b32 v89, v39, v49
	v_cndmask_b32_e64 v40, -v47, v47, s17
	v_cndmask_b32_e64 v41, -v98, v98, s17
	ds_bpermute_b32 v94, v39, v100
	s_wait_dscnt 0x9
	v_add_f32_e32 v34, v42, v90
	ds_bpermute_b32 v90, v39, v50
	s_wait_dscnt 0x8
	v_add_f32_e32 v163, v35, v43
	v_add_f32_e32 v35, v40, v91
	v_cndmask_b32_e64 v40, -v49, v49, s17
	s_wait_dscnt 0x7
	v_add_f32_e32 v46, v41, v92
	v_cndmask_b32_e64 v43, -v101, v101, s17
	ds_bpermute_b32 v92, v39, v102
	v_cndmask_b32_e64 v42, -v99, v99, s17
	ds_bpermute_b32 v48, v39, v52
	;; [unrolled: 2-line block ×3, first 2 shown]
	s_wait_dscnt 0x7
	v_add_f32_e32 v165, v36, v45
	v_cndmask_b32_e64 v36, -v51, v51, s17
	ds_bpermute_b32 v45, v39, v54
	s_wait_dscnt 0x6
	v_dual_add_f32 v166, v40, v89 :: v_dual_add_f32 v89, v43, v95
	v_add_f32_e32 v167, v36, v44
	ds_bpermute_b32 v44, v39, v57
	v_cndmask_b32_e64 v36, -v54, v54, s17
	ds_bpermute_b32 v95, v39, v104
	v_cndmask_b32_e64 v40, -v52, v52, s17
	v_cndmask_b32_e64 v43, -v103, v103, s17
	s_wait_dscnt 0x4
	s_delay_alu instid0(VALU_DEP_2)
	v_add_f32_e32 v168, v40, v48
	v_cndmask_b32_e64 v40, -v55, v55, s17
	ds_bpermute_b32 v48, v39, v58
	s_wait_dscnt 0x3
	v_add_f32_e32 v169, v36, v45
	v_cndmask_b32_e64 v36, -v57, v57, s17
	ds_bpermute_b32 v45, v39, v60
	s_wait_dscnt 0x3
	v_add_f32_e32 v171, v36, v44
	ds_bpermute_b32 v44, v39, v63
	v_add_f32_e32 v47, v42, v93
	v_cndmask_b32_e64 v42, -v100, v100, s17
	v_cndmask_b32_e64 v36, -v60, v60, s17
	v_add_f32_e32 v49, v41, v90
	ds_bpermute_b32 v90, v39, v55
	ds_bpermute_b32 v93, v39, v103
	v_add_f32_e32 v50, v42, v94
	v_cndmask_b32_e64 v42, -v102, v102, s17
	v_cndmask_b32_e64 v41, -v53, v53, s17
	ds_bpermute_b32 v94, v39, v56
	v_add_f32_e32 v52, v42, v92
	v_cndmask_b32_e64 v42, -v104, v104, s17
	ds_bpermute_b32 v92, v39, v106
	v_add_f32_e32 v51, v41, v91
	v_cndmask_b32_e64 v41, -v56, v56, s17
	ds_bpermute_b32 v91, v39, v59
	s_wait_dscnt 0x8
	v_add_f32_e32 v55, v42, v95
	ds_bpermute_b32 v95, v39, v108
	v_cndmask_b32_e64 v42, -v106, v106, s17
	s_wait_dscnt 0x5
	v_add_f32_e32 v170, v40, v90
	v_cndmask_b32_e64 v40, -v58, v58, s17
	ds_bpermute_b32 v90, v39, v61
	s_wait_dscnt 0x4
	v_add_f32_e32 v54, v41, v94
	v_add_f32_e32 v172, v40, v48
	v_cndmask_b32_e64 v40, -v61, v61, s17
	ds_bpermute_b32 v48, v39, v64
	v_cndmask_b32_e64 v41, -v59, v59, s17
	s_wait_dscnt 0x4
	v_add_f32_e32 v58, v42, v92
	v_cndmask_b32_e64 v42, -v108, v108, s17
	v_add_f32_e32 v108, v36, v45
	v_cndmask_b32_e64 v36, -v63, v63, s17
	ds_bpermute_b32 v92, v39, v110
	ds_bpermute_b32 v45, v39, v66
	s_wait_dscnt 0x4
	v_add_f32_e32 v61, v42, v95
	v_cndmask_b32_e64 v42, -v110, v110, s17
	v_add_f32_e32 v110, v36, v44
	ds_bpermute_b32 v44, v39, v69
	v_add_f32_e32 v53, v43, v93
	v_cndmask_b32_e64 v43, -v105, v105, s17
	ds_bpermute_b32 v93, v39, v107
	ds_bpermute_b32 v95, v39, v112
	v_cndmask_b32_e64 v36, -v66, v66, s17
	ds_bpermute_b32 v94, v39, v62
	v_add_f32_e32 v56, v43, v97
	ds_bpermute_b32 v97, v39, v109
	v_cndmask_b32_e64 v43, -v107, v107, s17
	v_add_f32_e32 v57, v41, v91
	v_cndmask_b32_e64 v41, -v62, v62, s17
	ds_bpermute_b32 v91, v39, v65
	s_wait_dscnt 0x4
	v_add_f32_e32 v59, v43, v93
	v_cndmask_b32_e64 v43, -v109, v109, s17
	ds_bpermute_b32 v93, v39, v111
	v_add_f32_e32 v109, v40, v90
	v_cndmask_b32_e64 v40, -v64, v64, s17
	ds_bpermute_b32 v90, v39, v67
	;; [unrolled: 3-line block ×4, first 2 shown]
	s_wait_dscnt 0x5
	v_add_f32_e32 v62, v43, v97
	v_cndmask_b32_e64 v43, -v111, v111, s17
	ds_bpermute_b32 v97, v39, v113
	v_add_f32_e32 v111, v40, v48
	v_cndmask_b32_e64 v40, -v67, v67, s17
	ds_bpermute_b32 v48, v39, v70
	;; [unrolled: 3-line block ×3, first 2 shown]
	v_add_f32_e32 v114, v36, v44
	ds_bpermute_b32 v44, v39, v75
	v_cndmask_b32_e64 v36, -v72, v72, s17
	v_add_f32_e32 v60, v41, v94
	v_cndmask_b32_e64 v41, -v65, v65, s17
	ds_bpermute_b32 v94, v39, v68
	s_wait_dscnt 0x8
	v_add_f32_e32 v65, v43, v93
	v_cndmask_b32_e64 v43, -v113, v113, s17
	ds_bpermute_b32 v93, v39, v115
	s_wait_dscnt 0x8
	;; [unrolled: 4-line block ×4, first 2 shown]
	v_add_f32_e32 v116, v36, v45
	v_cndmask_b32_e64 v36, -v75, v75, s17
	ds_bpermute_b32 v45, v39, v78
	v_add_f32_e32 v63, v41, v91
	v_cndmask_b32_e64 v41, -v68, v68, s17
	ds_bpermute_b32 v91, v39, v71
	s_wait_dscnt 0x9
	v_add_f32_e32 v68, v43, v97
	v_cndmask_b32_e64 v43, -v115, v115, s17
	ds_bpermute_b32 v97, v39, v117
	s_wait_dscnt 0x9
	;; [unrolled: 4-line block ×4, first 2 shown]
	v_add_f32_e32 v118, v36, v44
	ds_bpermute_b32 v44, v39, v81
	v_cndmask_b32_e64 v36, -v78, v78, s17
	s_wait_dscnt 0x9
	v_add_f32_e32 v66, v41, v94
	v_cndmask_b32_e64 v41, -v71, v71, s17
	ds_bpermute_b32 v94, v39, v74
	s_wait_dscnt 0x9
	v_add_f32_e32 v71, v43, v93
	v_cndmask_b32_e64 v43, -v117, v117, s17
	s_wait_dscnt 0x8
	v_add_f32_e32 v117, v40, v90
	v_cndmask_b32_e64 v40, -v76, v76, s17
	;; [unrolled: 3-line block ×5, first 2 shown]
	ds_bpermute_b32 v91, v39, v77
	ds_bpermute_b32 v93, v39, v119
	s_wait_dscnt 0x6
	v_add_f32_e32 v74, v43, v97
	v_cndmask_b32_e64 v43, -v119, v119, s17
	ds_bpermute_b32 v90, v39, v79
	s_wait_dscnt 0x6
	v_add_f32_e32 v119, v40, v48
	v_cndmask_b32_e64 v40, -v79, v79, s17
	;; [unrolled: 4-line block ×3, first 2 shown]
	ds_bpermute_b32 v45, v39, v84
	s_wait_dscnt 0x6
	v_add_f32_e32 v122, v36, v44
	ds_bpermute_b32 v44, v39, v28
	s_wait_dscnt 0x6
	v_add_f32_e32 v72, v41, v94
	v_cndmask_b32_e64 v41, -v77, v77, s17
	ds_bpermute_b32 v94, v39, v80
	v_cndmask_b32_e64 v36, -v84, v84, s17
	v_cndmask_b32_e64 v28, -v28, v28, s17
	ds_bpermute_b32 v97, v39, v121
	ds_bpermute_b32 v48, v39, v82
	;; [unrolled: 1-line block ×3, first 2 shown]
	s_wait_dscnt 0x8
	v_add_f32_e32 v77, v43, v93
	v_cndmask_b32_e64 v43, -v121, v121, s17
	ds_bpermute_b32 v93, v39, v123
	s_wait_dscnt 0x8
	v_add_f32_e32 v121, v40, v90
	v_cndmask_b32_e64 v40, -v82, v82, s17
	ds_bpermute_b32 v90, v39, v85
	;; [unrolled: 4-line block ×4, first 2 shown]
	s_wait_dscnt 0x8
	v_add_f32_e32 v127, v28, v44
	v_cndmask_b32_e64 v28, -v131, v131, s17
	v_add_f32_e32 v75, v41, v91
	ds_bpermute_b32 v91, v39, v83
	v_cndmask_b32_e64 v41, -v80, v80, s17
	s_wait_dscnt 0x7
	v_add_f32_e32 v80, v43, v97
	ds_bpermute_b32 v97, v39, v126
	v_cndmask_b32_e64 v43, -v123, v123, s17
	s_wait_dscnt 0x7
	v_dual_add_f32 v123, v40, v48 :: v_dual_add_f32 v78, v41, v94
	v_cndmask_b32_e64 v41, -v83, v83, s17
	ds_bpermute_b32 v94, v39, v86
	s_wait_dscnt 0x6
	v_add_f32_e32 v83, v43, v93
	v_cndmask_b32_e64 v40, -v85, v85, s17
	v_cndmask_b32_e64 v43, -v126, v126, s17
	ds_bpermute_b32 v93, v39, v129
	ds_bpermute_b32 v44, v39, v147
	ds_bpermute_b32 v48, v39, v29
	s_wait_dscnt 0x8
	v_add_f32_e32 v126, v40, v90
	v_cndmask_b32_e64 v40, -v129, v129, s17
	v_add_f32_e32 v85, v42, v95
	ds_bpermute_b32 v95, v39, v133
	v_cndmask_b32_e64 v29, -v29, v29, s17
	s_wait_dscnt 0x6
	v_add_f32_e32 v81, v41, v91
	ds_bpermute_b32 v91, v39, v30
	v_cndmask_b32_e64 v41, -v86, v86, s17
	v_cndmask_b32_e64 v30, -v30, v30, s17
	s_wait_dscnt 0x6
	v_add_f32_e32 v86, v43, v97
	ds_bpermute_b32 v43, v39, v26
	v_cndmask_b32_e64 v26, -v26, v26, s17
	ds_bpermute_b32 v42, v39, v25
	s_wait_dscnt 0x7
	v_add_f32_e32 v84, v41, v94
	ds_bpermute_b32 v41, v39, v24
	v_cndmask_b32_e64 v24, -v24, v24, s17
	v_cndmask_b32_e64 v25, -v25, v25, s17
	v_add_f32_e32 v94, v28, v45
	v_cndmask_b32_e64 v28, -v148, v148, s17
	s_wait_dscnt 0x3
	v_add_f32_e32 v90, v30, v91
	ds_bpermute_b32 v30, v39, v27
	v_add_f32_e32 v91, v36, v92
	v_add_f32_e32 v92, v40, v93
	ds_bpermute_b32 v40, v39, v87
	s_wait_dscnt 0x4
	v_add_f32_e32 v93, v26, v43
	ds_bpermute_b32 v43, v39, v150
	v_cndmask_b32_e64 v26, -v87, v87, s17
	s_wait_dscnt 0x3
	v_add_f32_e32 v131, v24, v41
	v_cndmask_b32_e64 v24, -v27, v27, s17
	v_cndmask_b32_e64 v27, -v147, v147, s17
	ds_bpermute_b32 v36, v39, v31
	ds_bpermute_b32 v41, v39, v88
	v_add_f32_e32 v97, v27, v44
	ds_bpermute_b32 v27, v39, v12
	ds_bpermute_b32 v44, v39, v152
	v_cndmask_b32_e64 v12, -v12, v12, s17
	s_wait_dscnt 0x6
	v_add_f32_e32 v147, v24, v30
	ds_bpermute_b32 v30, v39, v14
	v_cndmask_b32_e64 v14, -v14, v14, s17
	s_wait_dscnt 0x6
	v_add_f32_e32 v87, v26, v40
	v_cndmask_b32_e64 v26, -v150, v150, s17
	v_cndmask_b32_e64 v24, -v88, v88, s17
	s_wait_dscnt 0x5
	s_delay_alu instid0(VALU_DEP_2)
	v_add_f32_e32 v100, v26, v43
	ds_bpermute_b32 v26, v39, v17
	s_wait_dscnt 0x4
	v_add_f32_e32 v88, v24, v41
	ds_bpermute_b32 v24, v39, v15
	s_wait_dscnt 0x2
	v_add_f32_e32 v40, v14, v30
	v_cndmask_b32_e64 v14, -v17, v17, s17
	ds_bpermute_b32 v17, v39, v4
	v_cndmask_b32_e64 v4, -v4, v4, s17
	v_add_f32_e32 v129, v29, v48
	v_cndmask_b32_e64 v29, -v133, v133, s17
	ds_bpermute_b32 v48, v39, v148
	ds_bpermute_b32 v30, v38, v46
	v_add_f32_e32 v95, v29, v95
	ds_bpermute_b32 v29, v39, v20
	v_cndmask_b32_e64 v20, -v20, v20, s17
	s_wait_dscnt 0x3
	v_add_f32_e32 v106, v4, v17
	v_cndmask_b32_e64 v4, -v5, v5, s17
	v_add_f32_e32 v133, v25, v42
	v_cndmask_b32_e64 v25, -v31, v31, s17
	ds_bpermute_b32 v31, v39, v21
	ds_bpermute_b32 v42, v39, v149
	s_wait_dscnt 0x4
	v_add_f32_e32 v98, v28, v48
	ds_bpermute_b32 v28, v39, v13
	v_add_f32_e32 v148, v25, v36
	v_cndmask_b32_e64 v25, -v149, v149, s17
	s_wait_dscnt 0x3
	v_add_f32_e32 v149, v20, v29
	ds_bpermute_b32 v29, v39, v153
	v_cndmask_b32_e64 v21, -v21, v21, s17
	ds_bpermute_b32 v36, v39, v151
	v_cndmask_b32_e64 v13, -v13, v13, s17
	v_cndmask_b32_e64 v20, -v151, v151, s17
	v_add_f32_e32 v151, v12, v27
	v_cndmask_b32_e64 v12, -v15, v15, s17
	v_cndmask_b32_e64 v15, -v153, v153, s17
	ds_bpermute_b32 v27, v39, v7
	ds_bpermute_b32 v17, v38, v157
	v_cndmask_b32_e64 v7, -v7, v7, s17
	ds_bpermute_b32 v128, v38, v148
	s_wait_dscnt 0x7
	v_add_f32_e32 v150, v21, v31
	s_wait_dscnt 0x6
	v_add_f32_e32 v99, v25, v42
	v_cndmask_b32_e64 v21, -v152, v152, s17
	ds_bpermute_b32 v25, v39, v16
	ds_bpermute_b32 v31, v39, v154
	s_wait_dscnt 0x7
	v_add_f32_e32 v152, v13, v28
	ds_bpermute_b32 v28, v39, v37
	v_add_f32_e32 v42, v21, v44
	ds_bpermute_b32 v21, v39, v9
	s_wait_dscnt 0x8
	v_add_f32_e32 v44, v15, v29
	ds_bpermute_b32 v15, v39, v5
	s_wait_dscnt 0x8
	v_add_f32_e32 v41, v20, v36
	v_cndmask_b32_e64 v13, -v16, v16, s17
	v_cndmask_b32_e64 v16, -v154, v154, s17
	ds_bpermute_b32 v20, v39, v8
	v_cndmask_b32_e64 v9, -v9, v9, s17
	ds_bpermute_b32 v29, v38, v35
	v_add_f32_e32 v43, v14, v26
	ds_bpermute_b32 v14, v39, v1
	v_cndmask_b32_e64 v8, -v8, v8, s17
	v_cndmask_b32_e64 v1, -v1, v1, s17
	;; [unrolled: 1-line block ×3, first 2 shown]
	s_wait_dscnt 0xa
	v_add_f32_e32 v104, v7, v27
	s_wait_dscnt 0x6
	v_dual_add_f32 v102, v13, v25 :: v_dual_add_f32 v45, v16, v31
	ds_bpermute_b32 v13, v39, v0
	ds_bpermute_b32 v31, v38, v47
	v_add_f32_e32 v101, v12, v24
	v_cndmask_b32_e64 v12, -v37, v37, s17
	ds_bpermute_b32 v16, v39, v155
	s_wait_dscnt 0x7
	v_add_f32_e32 v105, v9, v21
	ds_bpermute_b32 v9, v38, v3
	s_wait_dscnt 0x7
	v_add_f32_e32 v36, v4, v15
	v_add_f32_e32 v103, v12, v28
	ds_bpermute_b32 v12, v38, v6
	ds_bpermute_b32 v15, v38, v11
	s_wait_dscnt 0x8
	v_add_f32_e32 v107, v8, v20
	v_cndmask_b32_e64 v0, -v0, v0, s17
	ds_bpermute_b32 v8, v38, v2
	ds_bpermute_b32 v20, v38, v158
	ds_bpermute_b32 v24, v39, v156
	s_wait_dscnt 0x9
	v_add_f32_e32 v39, v1, v14
	v_cndmask_b32_e64 v1, -v3, v3, s0
	ds_bpermute_b32 v14, v38, v10
	ds_bpermute_b32 v21, v38, v159
	s_wait_dscnt 0xa
	v_add_f32_e32 v153, v0, v13
	v_cndmask_b32_e64 v0, -v2, v2, s0
	v_cndmask_b32_e64 v2, -v6, v6, s0
	;; [unrolled: 1-line block ×3, first 2 shown]
	s_wait_dscnt 0x8
	v_add_f32_e32 v37, v5, v16
	ds_bpermute_b32 v16, v38, v18
	s_wait_dscnt 0x8
	v_add_f32_e32 v5, v1, v9
	v_cndmask_b32_e64 v1, -v10, v10, s0
	ds_bpermute_b32 v10, v38, v19
	s_wait_dscnt 0x8
	v_add_f32_e32 v6, v2, v12
	v_cndmask_b32_e64 v2, -v11, v11, s0
	ds_bpermute_b32 v11, v38, v22
	v_cndmask_b32_e64 v7, -v156, v156, s17
	s_wait_dscnt 0x7
	v_add_f32_e32 v4, v0, v8
	s_wait_dscnt 0x6
	v_add_f32_e32 v0, v13, v20
	v_add_f32_e32 v2, v2, v15
	v_cndmask_b32_e64 v15, -v22, v22, s0
	ds_bpermute_b32 v22, v38, v34
	ds_bpermute_b32 v13, v38, v161
	v_cndmask_b32_e64 v3, -v157, v157, s0
	s_wait_dscnt 0x6
	v_add_f32_e32 v1, v1, v14
	v_cndmask_b32_e64 v14, -v19, v19, s0
	v_add_f32_e32 v48, v7, v24
	v_cndmask_b32_e64 v8, -v159, v159, s0
	;; [unrolled: 2-line block ×3, first 2 shown]
	ds_bpermute_b32 v12, v38, v23
	ds_bpermute_b32 v24, v38, v160
	s_wait_dscnt 0x5
	v_add_f32_e32 v10, v14, v10
	v_cndmask_b32_e64 v14, -v34, v34, s0
	ds_bpermute_b32 v18, v38, v162
	v_add_f32_e32 v8, v8, v21
	v_cndmask_b32_e64 v17, -v161, v161, s0
	ds_bpermute_b32 v20, v38, v32
	ds_bpermute_b32 v21, v38, v33
	;; [unrolled: 1-line block ×3, first 2 shown]
	v_cndmask_b32_e64 v9, -v160, v160, s0
	s_wait_dscnt 0x7
	v_add_f32_e32 v25, v14, v22
	v_cndmask_b32_e64 v14, -v47, v47, s0
	ds_bpermute_b32 v47, v38, v109
	v_add_f32_e32 v3, v3, v16
	v_cndmask_b32_e64 v16, -v23, v23, s0
	ds_bpermute_b32 v23, v38, v163
	s_wait_dscnt 0x8
	v_add_f32_e32 v17, v17, v13
	v_cndmask_b32_e64 v13, -v33, v33, s0
	ds_bpermute_b32 v33, v38, v166
	v_cndmask_b32_e64 v19, -v162, v162, s0
	s_wait_dscnt 0x8
	v_dual_add_f32 v11, v15, v11 :: v_dual_add_f32 v16, v16, v12
	v_cndmask_b32_e64 v12, -v32, v32, s0
	v_cndmask_b32_e64 v15, -v163, v163, s0
	;; [unrolled: 1-line block ×3, first 2 shown]
	ds_bpermute_b32 v32, v38, v165
	s_wait_dscnt 0x7
	v_dual_add_f32 v9, v9, v24 :: v_dual_add_f32 v18, v19, v18
	s_wait_dscnt 0x5
	v_dual_add_f32 v19, v12, v20 :: v_dual_add_f32 v24, v13, v21
	s_wait_dscnt 0x4
	v_add_f32_e32 v27, v28, v27
	v_cndmask_b32_e64 v12, -v35, v35, s0
	v_cndmask_b32_e64 v20, -v166, v166, s0
	ds_bpermute_b32 v21, v38, v49
	ds_bpermute_b32 v22, v38, v50
	s_wait_dscnt 0x4
	v_add_f32_e32 v26, v15, v23
	ds_bpermute_b32 v23, v38, v89
	ds_bpermute_b32 v28, v38, v167
	;; [unrolled: 1-line block ×3, first 2 shown]
	v_add_f32_e32 v134, v12, v29
	v_add_f32_e32 v136, v14, v31
	s_wait_dscnt 0x6
	v_add_f32_e32 v138, v20, v33
	ds_bpermute_b32 v29, v38, v51
	ds_bpermute_b32 v31, v38, v53
	;; [unrolled: 1-line block ×3, first 2 shown]
	v_cndmask_b32_e64 v13, -v46, v46, s0
	v_cndmask_b32_e64 v15, -v165, v165, s0
	;; [unrolled: 1-line block ×5, first 2 shown]
	v_add_f32_e32 v135, v13, v30
	s_wait_dscnt 0x8
	v_add_f32_e32 v137, v15, v32
	v_cndmask_b32_e64 v13, -v50, v50, s0
	v_cndmask_b32_e64 v15, -v167, v167, s0
	ds_bpermute_b32 v30, v38, v52
	ds_bpermute_b32 v32, v38, v169
	s_wait_dscnt 0x8
	v_dual_add_f32 v139, v12, v21 :: v_dual_add_f32 v140, v13, v22
	s_wait_dscnt 0x7
	v_add_f32_e32 v141, v14, v23
	s_wait_dscnt 0x5
	v_dual_add_f32 v49, v15, v28 :: v_dual_add_f32 v50, v20, v34
	v_cndmask_b32_e64 v12, -v51, v51, s0
	v_cndmask_b32_e64 v14, -v53, v53, s0
	;; [unrolled: 1-line block ×3, first 2 shown]
	ds_bpermute_b32 v21, v38, v54
	ds_bpermute_b32 v22, v38, v55
	;; [unrolled: 1-line block ×4, first 2 shown]
	s_wait_dscnt 0x7
	v_dual_add_f32 v51, v12, v29 :: v_dual_add_f32 v12, v14, v31
	s_wait_dscnt 0x6
	v_add_f32_e32 v14, v20, v33
	ds_bpermute_b32 v33, v38, v58
	v_cndmask_b32_e64 v13, -v52, v52, s0
	v_cndmask_b32_e64 v15, -v169, v169, s0
	ds_bpermute_b32 v34, v38, v172
	v_cndmask_b32_e64 v20, -v55, v55, s0
	v_cndmask_b32_e64 v29, -v56, v56, s0
	s_wait_dscnt 0x6
	v_dual_add_f32 v52, v13, v30 :: v_dual_add_f32 v13, v15, v32
	v_cndmask_b32_e64 v15, -v54, v54, s0
	v_cndmask_b32_e64 v30, -v171, v171, s0
	ds_bpermute_b32 v32, v38, v57
	ds_bpermute_b32 v35, v38, v59
	;; [unrolled: 1-line block ×3, first 2 shown]
	s_wait_dscnt 0x7
	v_dual_add_f32 v15, v15, v21 :: v_dual_add_f32 v20, v20, v22
	s_wait_dscnt 0x5
	v_dual_add_f32 v21, v29, v23 :: v_dual_add_f32 v22, v30, v28
	v_cndmask_b32_e64 v28, -v57, v57, s0
	v_cndmask_b32_e64 v29, -v58, v58, s0
	ds_bpermute_b32 v54, v38, v60
	ds_bpermute_b32 v57, v38, v110
	;; [unrolled: 1-line block ×3, first 2 shown]
	v_cndmask_b32_e64 v31, -v172, v172, s0
	v_cndmask_b32_e64 v30, -v59, v59, s0
	ds_bpermute_b32 v55, v38, v61
	ds_bpermute_b32 v56, v38, v62
	s_wait_dscnt 0x9
	v_add_f32_e32 v33, v29, v33
	v_cndmask_b32_e64 v29, -v60, v60, s0
	ds_bpermute_b32 v59, v38, v63
	ds_bpermute_b32 v60, v38, v64
	ds_bpermute_b32 v89, v38, v113
	s_wait_dscnt 0xb
	v_add_f32_e32 v23, v31, v34
	v_cndmask_b32_e64 v31, -v108, v108, s0
	v_cndmask_b32_e64 v53, -v109, v109, s0
	s_wait_dscnt 0xa
	v_add_f32_e32 v32, v28, v32
	s_wait_dscnt 0x9
	v_add_f32_e32 v34, v30, v35
	v_cndmask_b32_e64 v30, -v61, v61, s0
	s_wait_dscnt 0x8
	v_dual_add_f32 v35, v31, v46 :: v_dual_add_f32 v28, v53, v47
	v_cndmask_b32_e64 v31, -v62, v62, s0
	v_cndmask_b32_e64 v46, -v110, v110, s0
	;; [unrolled: 1-line block ×3, first 2 shown]
	ds_bpermute_b32 v62, v38, v112
	s_wait_dscnt 0x8
	v_add_f32_e32 v29, v29, v54
	ds_bpermute_b32 v108, v38, v68
	s_wait_dscnt 0x7
	v_dual_add_f32 v53, v46, v57 :: v_dual_add_f32 v54, v47, v58
	v_cndmask_b32_e64 v46, -v63, v63, s0
	v_cndmask_b32_e64 v47, -v64, v64, s0
	;; [unrolled: 1-line block ×3, first 2 shown]
	ds_bpermute_b32 v64, v38, v66
	ds_bpermute_b32 v109, v38, v114
	;; [unrolled: 1-line block ×4, first 2 shown]
	s_wait_dscnt 0x9
	v_dual_add_f32 v30, v30, v55 :: v_dual_add_f32 v31, v31, v56
	v_cndmask_b32_e64 v57, -v65, v65, s0
	ds_bpermute_b32 v65, v38, v67
	s_wait_dscnt 0x8
	v_dual_add_f32 v55, v46, v59 :: v_dual_add_f32 v56, v47, v60
	s_wait_dscnt 0x7
	v_add_f32_e32 v59, v63, v89
	v_cndmask_b32_e64 v47, -v67, v67, s0
	ds_bpermute_b32 v67, v38, v69
	ds_bpermute_b32 v89, v38, v71
	v_cndmask_b32_e64 v58, -v112, v112, s0
	v_cndmask_b32_e64 v46, -v66, v66, s0
	;; [unrolled: 1-line block ×4, first 2 shown]
	ds_bpermute_b32 v111, v38, v116
	s_wait_dscnt 0x9
	v_add_f32_e32 v58, v58, v62
	v_cndmask_b32_e64 v62, -v68, v68, s0
	ds_bpermute_b32 v68, v38, v70
	ds_bpermute_b32 v112, v38, v117
	s_wait_dscnt 0x9
	v_add_f32_e32 v60, v46, v64
	s_wait_dscnt 0x7
	v_add_f32_e32 v64, v66, v110
	v_add_f32_e32 v62, v62, v108
	v_cndmask_b32_e64 v46, -v69, v69, s0
	v_cndmask_b32_e64 v69, -v71, v71, s0
	ds_bpermute_b32 v108, v38, v72
	ds_bpermute_b32 v110, v38, v74
	;; [unrolled: 1-line block ×5, first 2 shown]
	v_add_f32_e32 v63, v63, v109
	ds_bpermute_b32 v109, v38, v73
	s_wait_dscnt 0xc
	v_add_f32_e32 v57, v57, v61
	ds_bpermute_b32 v115, v38, v120
	ds_bpermute_b32 v130, v38, v149
	s_wait_dscnt 0xd
	v_add_f32_e32 v61, v47, v65
	v_cndmask_b32_e64 v47, -v70, v70, s0
	v_cndmask_b32_e64 v70, -v116, v116, s0
	s_wait_dscnt 0xc
	v_add_f32_e32 v65, v46, v67
	s_wait_dscnt 0xb
	v_add_f32_e32 v67, v69, v89
	ds_bpermute_b32 v89, v38, v75
	ds_bpermute_b32 v116, v38, v121
	v_cndmask_b32_e64 v71, -v117, v117, s0
	ds_bpermute_b32 v117, v38, v80
	s_wait_dscnt 0xc
	v_add_f32_e32 v66, v47, v68
	v_add_f32_e32 v68, v70, v111
	v_cndmask_b32_e64 v46, -v72, v72, s0
	v_cndmask_b32_e64 v47, -v73, v73, s0
	;; [unrolled: 1-line block ×5, first 2 shown]
	ds_bpermute_b32 v111, v38, v76
	s_wait_dscnt 0xc
	v_add_f32_e32 v69, v71, v112
	ds_bpermute_b32 v112, v38, v77
	s_wait_dscnt 0x7
	v_dual_add_f32 v70, v46, v108 :: v_dual_add_f32 v71, v47, v109
	v_dual_add_f32 v72, v72, v110 :: v_dual_add_f32 v73, v73, v113
	v_add_f32_e32 v74, v74, v114
	v_cndmask_b32_e64 v46, -v75, v75, s0
	v_cndmask_b32_e64 v109, -v120, v120, s0
	;; [unrolled: 1-line block ×3, first 2 shown]
	ds_bpermute_b32 v113, v38, v78
	ds_bpermute_b32 v114, v38, v79
	;; [unrolled: 1-line block ×4, first 2 shown]
	s_wait_dscnt 0x8
	v_add_f32_e32 v75, v46, v89
	s_wait_dscnt 0x7
	v_dual_add_f32 v109, v109, v115 :: v_dual_add_f32 v110, v110, v116
	v_cndmask_b32_e64 v46, -v78, v78, s0
	v_cndmask_b32_e64 v78, -v80, v80, s0
	ds_bpermute_b32 v89, v38, v81
	ds_bpermute_b32 v115, v38, v82
	;; [unrolled: 1-line block ×5, first 2 shown]
	v_cndmask_b32_e64 v47, -v76, v76, s0
	v_cndmask_b32_e64 v80, -v123, v123, s0
	s_wait_dscnt 0xb
	v_add_f32_e32 v78, v78, v117
	ds_bpermute_b32 v117, v38, v84
	ds_bpermute_b32 v123, v38, v129
	v_cndmask_b32_e64 v77, -v77, v77, s0
	s_wait_dscnt 0xc
	v_add_f32_e32 v76, v47, v111
	v_cndmask_b32_e64 v47, -v79, v79, s0
	v_cndmask_b32_e64 v79, -v122, v122, s0
	s_wait_dscnt 0xa
	v_dual_add_f32 v111, v46, v113 :: v_dual_add_f32 v108, v77, v112
	v_cndmask_b32_e64 v46, -v81, v81, s0
	s_wait_dscnt 0x9
	v_add_f32_e32 v77, v47, v114
	s_wait_dscnt 0x8
	v_add_f32_e32 v79, v79, v118
	v_cndmask_b32_e64 v47, -v82, v82, s0
	v_cndmask_b32_e64 v81, -v83, v83, s0
	;; [unrolled: 1-line block ×4, first 2 shown]
	ds_bpermute_b32 v118, v38, v85
	ds_bpermute_b32 v122, v38, v127
	s_wait_dscnt 0x9
	v_add_f32_e32 v80, v80, v119
	ds_bpermute_b32 v119, v38, v86
	s_wait_dscnt 0x9
	v_add_f32_e32 v112, v46, v89
	s_wait_dscnt 0x7
	v_add_f32_e32 v114, v81, v116
	v_cndmask_b32_e64 v46, -v84, v84, s0
	v_cndmask_b32_e64 v84, -v86, v86, s0
	;; [unrolled: 1-line block ×3, first 2 shown]
	ds_bpermute_b32 v89, v38, v90
	ds_store_b128 v96, v[4:7]
	ds_store_b128 v96, v[0:3] offset:4096
	ds_store_b128 v96, v[8:11] offset:8192
	;; [unrolled: 1-line block ×7, first 2 shown]
	v_cndmask_b32_e64 v49, -v39, v39, s0
	v_add_f32_e32 v113, v47, v115
	s_wait_dscnt 0xf
	v_add_f32_e32 v115, v82, v120
	ds_bpermute_b32 v120, v38, v91
	v_cndmask_b32_e64 v52, -v37, v37, s0
	s_wait_dscnt 0xf
	v_add_f32_e32 v81, v83, v121
	ds_bpermute_b32 v121, v38, v92
	s_wait_dscnt 0xf
	v_add_f32_e32 v82, v46, v117
	s_wait_dscnt 0xe
	v_add_f32_e32 v117, v86, v123
	ds_bpermute_b32 v123, v38, v95
	v_cndmask_b32_e64 v47, -v85, v85, s0
	v_cndmask_b32_e64 v85, -v127, v127, s0
	ds_bpermute_b32 v125, v38, v131
	v_cndmask_b32_e64 v46, -v90, v90, s0
	s_wait_loadcnt_dscnt 0x0
	s_barrier_signal -1
	v_add_f32_e32 v116, v85, v122
	v_cndmask_b32_e64 v85, -v92, v92, s0
	ds_bpermute_b32 v92, v38, v93
	ds_bpermute_b32 v122, v38, v94
	s_barrier_wait -1
	s_wait_dscnt 0x0
	global_inv scope:SCOPE_SE
	ds_load_b128 v[0:3], v124
	ds_load_b128 v[4:7], v124 offset:8192
	ds_load_b128 v[8:11], v124 offset:16384
	;; [unrolled: 1-line block ×3, first 2 shown]
	v_add_f32_e32 v83, v47, v118
	v_cndmask_b32_e64 v47, -v91, v91, s0
	ds_bpermute_b32 v126, v38, v133
	v_add_f32_e32 v84, v84, v119
	v_cndmask_b32_e64 v86, -v131, v131, s0
	ds_bpermute_b32 v127, v38, v147
	v_dual_add_f32 v118, v46, v89 :: v_dual_add_f32 v119, v47, v120
	v_add_f32_e32 v89, v85, v121
	v_cndmask_b32_e64 v46, -v93, v93, s0
	v_cndmask_b32_e64 v47, -v94, v94, s0
	;; [unrolled: 1-line block ×4, first 2 shown]
	ds_bpermute_b32 v94, v38, v87
	ds_bpermute_b32 v95, v38, v97
	;; [unrolled: 1-line block ×4, first 2 shown]
	v_cndmask_b32_e64 v91, -v133, v133, s0
	v_add_f32_e32 v121, v85, v123
	s_wait_dscnt 0x8
	v_dual_add_f32 v123, v93, v128 :: v_dual_add_f32 v174, v3, v7
	ds_bpermute_b32 v93, v38, v88
	ds_bpermute_b32 v133, v38, v100
	;; [unrolled: 1-line block ×3, first 2 shown]
	v_add_f32_e32 v90, v86, v125
	v_cndmask_b32_e64 v86, -v147, v147, s0
	v_add_f32_e32 v92, v46, v92
	v_add_f32_e32 v120, v47, v122
	v_cndmask_b32_e64 v46, -v87, v87, s0
	v_cndmask_b32_e64 v47, -v97, v97, s0
	;; [unrolled: 1-line block ×4, first 2 shown]
	s_wait_dscnt 0x8
	v_dual_add_f32 v91, v91, v126 :: v_dual_add_f32 v170, v8, v16
	s_wait_dscnt 0x7
	v_add_f32_e32 v122, v86, v127
	v_cndmask_b32_e64 v86, -v149, v149, s0
	ds_bpermute_b32 v132, v38, v99
	s_wait_dscnt 0x6
	v_dual_add_f32 v125, v46, v94 :: v_dual_add_f32 v126, v47, v95
	s_wait_dscnt 0x5
	v_add_f32_e32 v127, v85, v129
	s_wait_dscnt 0x4
	v_add_f32_e32 v97, v87, v131
	v_cndmask_b32_e64 v46, -v88, v88, s0
	v_cndmask_b32_e64 v85, -v100, v100, s0
	;; [unrolled: 1-line block ×3, first 2 shown]
	ds_bpermute_b32 v88, v38, v40
	ds_bpermute_b32 v94, v38, v41
	;; [unrolled: 1-line block ×3, first 2 shown]
	v_add_f32_e32 v128, v86, v130
	v_cndmask_b32_e64 v86, -v151, v151, s0
	s_wait_dscnt 0x6
	v_add_f32_e32 v98, v46, v93
	s_wait_dscnt 0x4
	v_dual_add_f32 v100, v85, v133 :: v_dual_add_f32 v143, v87, v143
	ds_bpermute_b32 v46, v38, v43
	ds_bpermute_b32 v85, v38, v45
	;; [unrolled: 1-line block ×3, first 2 shown]
	v_add_f32_e32 v142, v86, v142
	ds_bpermute_b32 v86, v38, v106
	v_cndmask_b32_e64 v47, -v99, v99, s0
	v_cndmask_b32_e64 v40, -v40, v40, s0
	;; [unrolled: 1-line block ×4, first 2 shown]
	ds_bpermute_b32 v130, v38, v102
	s_wait_dscnt 0x8
	v_add_f32_e32 v99, v47, v132
	ds_bpermute_b32 v47, v38, v44
	s_wait_dscnt 0x7
	v_dual_add_f32 v144, v40, v88 :: v_dual_add_f32 v145, v41, v94
	s_wait_dscnt 0x6
	v_add_f32_e32 v154, v42, v95
	v_cndmask_b32_e64 v40, -v43, v43, s0
	v_cndmask_b32_e64 v41, -v44, v44, s0
	;; [unrolled: 1-line block ×5, first 2 shown]
	s_wait_dscnt 0x5
	v_add_f32_e32 v157, v40, v46
	ds_bpermute_b32 v40, v38, v105
	s_wait_dscnt 0x5
	v_add_f32_e32 v159, v42, v85
	s_wait_dscnt 0x4
	v_add_f32_e32 v161, v44, v87
	ds_bpermute_b32 v42, v38, v104
	ds_bpermute_b32 v44, v38, v103
	;; [unrolled: 1-line block ×3, first 2 shown]
	s_wait_dscnt 0x6
	v_add_f32_e32 v160, v43, v86
	ds_bpermute_b32 v85, v38, v39
	ds_bpermute_b32 v86, v38, v36
	;; [unrolled: 1-line block ×5, first 2 shown]
	v_cndmask_b32_e64 v93, -v101, v101, s0
	v_cndmask_b32_e64 v101, -v102, v102, s0
	s_wait_dscnt 0x9
	v_add_f32_e32 v158, v41, v47
	v_cndmask_b32_e64 v41, -v105, v105, s0
	v_cndmask_b32_e64 v43, -v104, v104, s0
	;; [unrolled: 1-line block ×4, first 2 shown]
	v_add_f32_e32 v156, v101, v130
	s_wait_dscnt 0x8
	v_add_f32_e32 v101, v41, v40
	v_cndmask_b32_e64 v51, -v36, v36, s0
	v_cndmask_b32_e64 v48, -v48, v48, s0
	s_wait_dscnt 0x6
	v_dual_add_f32 v102, v43, v42 :: v_dual_add_f32 v103, v45, v44
	s_wait_dscnt 0x5
	v_add_f32_e32 v104, v47, v46
	ds_load_b128 v[36:39], v124 offset:4096
	ds_load_b128 v[44:47], v124 offset:12288
	;; [unrolled: 1-line block ×4, first 2 shown]
	s_wait_dscnt 0x7
	v_dual_add_f32 v134, v49, v85 :: v_dual_add_f32 v135, v51, v86
	s_wait_dscnt 0x6
	v_add_f32_e32 v136, v52, v87
	s_wait_dscnt 0x5
	v_add_f32_e32 v137, v48, v50
	s_wait_loadcnt_dscnt 0x0
	s_barrier_signal -1
	s_barrier_wait -1
	global_inv scope:SCOPE_SE
	ds_store_b128 v96, v[12:15]
	ds_store_b128 v96, v[20:23] offset:4096
	ds_store_b128 v96, v[32:35] offset:8192
	;; [unrolled: 1-line block ×7, first 2 shown]
	s_wait_loadcnt_dscnt 0x0
	s_barrier_signal -1
	s_barrier_wait -1
	global_inv scope:SCOPE_SE
	ds_load_b128 v[56:59], v124
	ds_load_b128 v[32:35], v124 offset:4096
	ds_load_b128 v[60:63], v124 offset:8192
	ds_load_b128 v[52:55], v124 offset:12288
	ds_load_b128 v[28:31], v124 offset:16384
	ds_load_b128 v[12:15], v124 offset:20480
	ds_load_b128 v[48:51], v124 offset:24576
	ds_load_b128 v[20:23], v124 offset:28672
	v_dual_add_f32 v155, v93, v129 :: v_dual_add_f32 v168, v0, v4
	v_add_f32_e32 v172, v2, v6
	s_wait_loadcnt_dscnt 0x0
	s_barrier_signal -1
	s_barrier_wait -1
	global_inv scope:SCOPE_SE
	ds_store_b128 v96, v[69:72]
	ds_store_b128 v96, v[73:76] offset:4096
	ds_store_b128 v96, v[108:111] offset:8192
	;; [unrolled: 1-line block ×7, first 2 shown]
	s_wait_loadcnt_dscnt 0x0
	s_barrier_signal -1
	s_barrier_wait -1
	global_inv scope:SCOPE_SE
	ds_load_b128 v[88:91], v124
	ds_load_b128 v[76:79], v124 offset:4096
	ds_load_b128 v[92:95], v124 offset:8192
	;; [unrolled: 1-line block ×7, first 2 shown]
	v_add_f32_e32 v176, v36, v44
	v_add_f32_e32 v178, v24, v40
	;; [unrolled: 1-line block ×4, first 2 shown]
	s_wait_loadcnt_dscnt 0x0
	s_barrier_signal -1
	v_add_f32_e32 v148, v176, v178
	s_barrier_wait -1
	v_add_f32_e32 v150, v180, v182
	global_inv scope:SCOPE_SE
	v_add_f32_e32 v216, v57, v61
	v_add_f32_e32 v218, v59, v63
	;; [unrolled: 1-line block ×9, first 2 shown]
	ds_store_b128 v96, v[120:123]
	ds_store_b128 v96, v[125:128] offset:4096
	ds_store_b128 v96, v[97:100] offset:8192
	;; [unrolled: 1-line block ×7, first 2 shown]
	s_wait_loadcnt_dscnt 0x0
	s_barrier_signal -1
	s_barrier_wait -1
	global_inv scope:SCOPE_SE
	ds_load_b128 v[100:103], v124
	ds_load_b128 v[96:99], v124 offset:4096
	ds_load_b128 v[104:107], v124 offset:8192
	;; [unrolled: 1-line block ×7, first 2 shown]
	v_dual_add_f32 v175, v11, v19 :: v_dual_add_f32 v240, v73, v81
	v_add_f32_e32 v215, v56, v60
	v_add_f32_e32 v217, v58, v62
	v_dual_add_f32 v169, v1, v5 :: v_dual_add_f32 v238, v79, v87
	v_dual_add_f32 v171, v9, v17 :: v_dual_add_f32 v242, v75, v83
	;; [unrolled: 1-line block ×5, first 2 shown]
	v_add_f32_e32 v183, v27, v43
	v_add_f32_e32 v147, v174, v175
	s_wait_dscnt 0x5
	v_dual_add_f32 v219, v32, v52 :: v_dual_add_f32 v248, v101, v105
	s_wait_dscnt 0x2
	v_dual_add_f32 v134, v121, v117 :: v_dual_add_f32 v225, v30, v50
	v_dual_add_f32 v136, v123, v119 :: v_dual_add_f32 v223, v28, v48
	v_add_f32_e32 v252, v97, v109
	s_wait_dscnt 0x0
	v_add_f32_e32 v138, v113, v125
	v_add_f32_e32 v186, v217, v225
	v_dual_add_f32 v177, v37, v45 :: v_dual_add_f32 v250, v103, v107
	v_dual_add_f32 v184, v215, v223 :: v_dual_add_f32 v179, v25, v41
	;; [unrolled: 1-line block ×3, first 2 shown]
	v_add_f32_e32 v185, v216, v224
	v_add_f32_e32 v193, v232, v240
	;; [unrolled: 1-line block ×9, first 2 shown]
	v_dual_add_f32 v128, v129, v184 :: v_dual_add_f32 v133, v172, v173
	v_add_f32_e32 v246, v67, v71
	s_delay_alu instid0(VALU_DEP_4)
	v_dual_add_f32 v204, v251, v137 :: v_dual_add_f32 v149, v177, v179
	scratch_store_b32 off, v128, off offset:88 ; 4-byte Folded Spill
	v_dual_add_f32 v128, v131, v185 :: v_dual_add_f32 v221, v34, v54
	v_dual_add_f32 v140, v115, v127 :: v_dual_add_f32 v229, v14, v22
	v_add_f32_e32 v227, v12, v20
	v_add_f32_e32 v247, v100, v104
	;; [unrolled: 1-line block ×3, first 2 shown]
	scratch_store_b32 off, v128, off offset:92 ; 4-byte Folded Spill
	v_add_f32_e32 v128, v133, v186
	v_dual_add_f32 v249, v102, v106 :: v_dual_add_f32 v190, v221, v229
	v_add_f32_e32 v188, v219, v227
	v_add_f32_e32 v151, v181, v183
	scratch_store_b32 off, v128, off offset:96 ; 4-byte Folded Spill
	v_dual_add_f32 v128, v147, v187 :: v_dual_add_f32 v255, v120, v116
	v_add_f32_e32 v199, v238, v246
	v_add_f32_e32 v207, v254, v140
	;; [unrolled: 1-line block ×3, first 2 shown]
	scratch_store_b32 off, v128, off offset:72 ; 4-byte Folded Spill
	v_dual_add_f32 v128, v148, v188 :: v_dual_add_f32 v253, v98, v110
	v_add_f32_e32 v195, v234, v242
	v_add_f32_e32 v203, v250, v136
	;; [unrolled: 1-line block ×3, first 2 shown]
	scratch_store_b32 off, v128, off offset:80 ; 4-byte Folded Spill
	v_add_f32_e32 v128, v149, v189
	s_mul_u64 s[0:1], s[26:27], s[28:29]
	s_wait_alu 0xfffe
	s_lshl_b64 s[0:1], s[0:1], 1
	scratch_store_b32 off, v128, off offset:76 ; 4-byte Folded Spill
	v_dual_add_f32 v128, v150, v190 :: v_dual_add_f32 v239, v72, v80
	v_dual_add_f32 v200, v247, v255 :: v_dual_add_f32 v135, v122, v118
	v_add_f32_e32 v233, v90, v94
	v_add_f32_e32 v241, v74, v82
	scratch_store_b32 off, v128, off offset:100 ; 4-byte Folded Spill
	v_add_f32_e32 v128, v151, v191
	v_dual_add_f32 v202, v249, v135 :: v_dual_add_f32 v231, v88, v92
	v_add_f32_e32 v194, v233, v241
	s_wait_alu 0xfffe
	s_add_nc_u64 s[0:1], s[22:23], s[0:1]
	scratch_store_b32 off, v128, off offset:84 ; 4-byte Folded Spill
	v_add_f32_e32 v192, v231, v239
	s_delay_alu instid0(VALU_DEP_1)
	v_add_f32_e32 v128, v192, v200
	scratch_store_b32 off, v128, off offset:120 ; 4-byte Folded Spill
	v_add_f32_e32 v128, v193, v201
	scratch_store_b32 off, v128, off offset:124 ; 4-byte Folded Spill
	;; [unrolled: 2-line block ×3, first 2 shown]
	v_dual_add_f32 v128, v195, v203 :: v_dual_add_f32 v243, v64, v68
	v_dual_add_f32 v206, v253, v139 :: v_dual_add_f32 v237, v78, v86
	v_add_f32_e32 v235, v76, v84
	scratch_store_b32 off, v128, off offset:104 ; 4-byte Folded Spill
	v_add_f32_e32 v198, v237, v245
	v_add_f32_e32 v196, v235, v243
	s_delay_alu instid0(VALU_DEP_1)
	v_add_f32_e32 v128, v196, v204
	scratch_store_b32 off, v128, off offset:112 ; 4-byte Folded Spill
	v_add_f32_e32 v128, v197, v205
	scratch_store_b32 off, v128, off offset:108 ; 4-byte Folded Spill
	;; [unrolled: 2-line block ×4, first 2 shown]
	s_and_saveexec_b32 s17, s16
	s_cbranch_execz .LBB25_34
; %bb.33:
	v_dual_add_f32 v128, v151, v191 :: v_dual_add_f32 v141, v197, v205
	v_add_f32_e32 v130, v199, v207
	v_add_f32_e32 v132, v198, v206
	v_dual_add_f32 v142, v196, v204 :: v_dual_add_f32 v143, v195, v203
	v_add_f32_e32 v144, v192, v200
	s_delay_alu instid0(VALU_DEP_4) | instskip(SKIP_1) | instid1(VALU_DEP_1)
	v_add_f32_e32 v128, v128, v130
	v_add_f32_e32 v130, v150, v190
	;; [unrolled: 1-line block ×4, first 2 shown]
	s_delay_alu instid0(VALU_DEP_1) | instskip(SKIP_1) | instid1(VALU_DEP_1)
	v_add_f32_e32 v132, v132, v141
	v_add_f32_e32 v141, v148, v188
	v_dual_add_f32 v141, v141, v142 :: v_dual_add_f32 v142, v147, v187
	s_delay_alu instid0(VALU_DEP_1) | instskip(SKIP_1) | instid1(VALU_DEP_1)
	v_dual_add_f32 v145, v142, v143 :: v_dual_add_f32 v142, v133, v186
	v_add_f32_e32 v143, v194, v202
	v_dual_add_f32 v142, v142, v143 :: v_dual_add_f32 v143, v129, v184
	s_wait_kmcnt 0x0
	s_delay_alu instid0(VALU_DEP_1) | instskip(NEXT) | instid1(VALU_DEP_2)
	v_fma_mixlo_f16 v142, s20, v142, 0
	v_add_f32_e32 v152, v143, v144
	v_add_f32_e32 v143, v131, v185
	;; [unrolled: 1-line block ×3, first 2 shown]
	s_delay_alu instid0(VALU_DEP_4) | instskip(NEXT) | instid1(VALU_DEP_2)
	v_fma_mixhi_f16 v142, s20, v145, 0
	v_add_f32_e32 v153, v143, v144
	v_fma_mixlo_f16 v144, s20, v130, 0
	v_fma_mixlo_f16 v143, s20, v141, 0
	;; [unrolled: 1-line block ×3, first 2 shown]
	s_delay_alu instid0(VALU_DEP_3) | instskip(NEXT) | instid1(VALU_DEP_3)
	v_fma_mixhi_f16 v144, s20, v128, 0
	v_fma_mixhi_f16 v143, s20, v132, 0
	s_delay_alu instid0(VALU_DEP_3)
	v_fma_mixhi_f16 v141, s20, v153, 0
	global_store_b128 v146, v[141:144], s[0:1]
.LBB25_34:
	s_wait_alu 0xfffe
	s_or_b32 exec_lo, exec_lo, s17
	v_dual_sub_f32 v132, v10, v18 :: v_dual_sub_f32 v37, v37, v45
	v_dual_sub_f32 v128, v3, v7 :: v_dual_sub_f32 v41, v25, v41
	;; [unrolled: 1-line block ×4, first 2 shown]
	v_sub_f32_e32 v130, v11, v19
	v_dual_sub_f32 v42, v26, v42 :: v_dual_sub_f32 v33, v33, v53
	v_sub_f32_e32 v32, v32, v52
	v_dual_sub_f32 v52, v13, v21 :: v_dual_sub_f32 v79, v79, v87
	v_dual_sub_f32 v141, v1, v5 :: v_dual_sub_f32 v142, v0, v4
	;; [unrolled: 1-line block ×3, first 2 shown]
	v_sub_f32_e32 v145, v2, v6
	v_dual_sub_f32 v38, v38, v46 :: v_dual_sub_f32 v45, v56, v60
	v_add_f32_e32 v211, v36, v40
	v_dual_add_f32 v210, v128, v130 :: v_dual_sub_f32 v35, v35, v55
	s_delay_alu instid0(VALU_DEP_3)
	v_dual_add_f32 v212, v37, v41 :: v_dual_add_f32 v213, v38, v42
	v_dual_add_f32 v214, v39, v43 :: v_dual_sub_f32 v47, v58, v62
	v_dual_sub_f32 v44, v57, v61 :: v_dual_sub_f32 v51, v31, v51
	v_dual_sub_f32 v46, v59, v63 :: v_dual_sub_f32 v49, v29, v49
	;; [unrolled: 1-line block ×13, first 2 shown]
	v_sub_f32_e32 v159, v98, v110
	v_dual_sub_f32 v66, v66, v70 :: v_dual_sub_f32 v157, v96, v108
	v_dual_sub_f32 v152, v101, v105 :: v_dual_sub_f32 v161, v120, v116
	;; [unrolled: 1-line block ×5, first 2 shown]
	v_dual_sub_f32 v160, v121, v117 :: v_dual_add_f32 v63, v46, v51
	v_dual_sub_f32 v162, v123, v119 :: v_dual_add_f32 v61, v44, v49
	;; [unrolled: 1-line block ×4, first 2 shown]
	v_add_f32_e32 v208, v141, v144
	v_dual_add_f32 v146, v142, v143 :: v_dual_add_f32 v209, v145, v132
	v_dual_add_f32 v60, v45, v48 :: v_dual_add_f32 v75, v58, v94
	;; [unrolled: 1-line block ×12, first 2 shown]
	v_add_f32_e32 v88, v157, v165
	v_dual_add_f32 v4, v146, v60 :: v_dual_add_f32 v7, v213, v70
	v_dual_add_f32 v6, v209, v62 :: v_dual_add_f32 v11, v83, v91
	;; [unrolled: 1-line block ×4, first 2 shown]
	v_add_f32_e32 v12, v72, v84
	v_add_f32_e32 v14, v74, v86
	v_dual_add_f32 v8, v75, v87 :: v_dual_add_f32 v15, v82, v90
	v_add_f32_e32 v10, v80, v88
	s_and_saveexec_b32 s16, s10
	s_cbranch_execz .LBB25_36
; %bb.35:
	v_dual_add_f32 v16, v4, v12 :: v_dual_add_f32 v17, v6, v14
	s_delay_alu instid0(VALU_DEP_2) | instskip(SKIP_2) | instid1(VALU_DEP_3)
	v_dual_add_f32 v20, v5, v13 :: v_dual_add_f32 v21, v2, v10
	v_dual_add_f32 v18, v7, v15 :: v_dual_add_f32 v23, v1, v9
	s_wait_kmcnt 0x0
	v_fma_mixlo_f16 v16, s20, v16, 0
	v_add_f32_e32 v22, v0, v8
	v_add_f32_e32 v24, v3, v11
	v_fma_mixlo_f16 v19, s20, v18, 0
	v_fma_mixlo_f16 v18, s20, v21, 0
	v_fma_mixhi_f16 v16, s20, v20, 0
	scratch_load_b32 v20, off, off offset:44 th:TH_LOAD_LU ; 4-byte Folded Reload
	v_fma_mixlo_f16 v17, s20, v17, 0
	v_fma_mixhi_f16 v19, s20, v24, 0
	v_fma_mixhi_f16 v18, s20, v23, 0
	s_delay_alu instid0(VALU_DEP_3)
	v_fma_mixhi_f16 v17, s20, v22, 0
	s_wait_loadcnt 0x0
	global_store_b128 v20, v[16:19], s[0:1]
.LBB25_36:
	s_wait_alu 0xfffe
	s_or_b32 exec_lo, exec_lo, s16
	v_dual_sub_f32 v96, v168, v170 :: v_dual_sub_f32 v97, v169, v171
	v_dual_sub_f32 v98, v172, v173 :: v_dual_sub_f32 v99, v174, v175
	;; [unrolled: 1-line block ×16, first 2 shown]
	v_dual_add_f32 v20, v96, v104 :: v_dual_add_f32 v21, v97, v105
	v_dual_add_f32 v22, v98, v106 :: v_dual_add_f32 v17, v101, v109
	;; [unrolled: 1-line block ×8, first 2 shown]
	s_and_saveexec_b32 s10, s7
	s_cbranch_execz .LBB25_38
; %bb.37:
	v_dual_add_f32 v134, v20, v28 :: v_dual_add_f32 v135, v22, v30
	s_delay_alu instid0(VALU_DEP_2) | instskip(SKIP_2) | instid1(VALU_DEP_3)
	v_dual_add_f32 v138, v21, v29 :: v_dual_add_f32 v139, v18, v26
	v_add_f32_e32 v136, v23, v31
	s_wait_kmcnt 0x0
	v_fma_mixlo_f16 v134, s20, v134, 0
	v_dual_add_f32 v140, v16, v24 :: v_dual_add_f32 v169, v19, v27
	v_add_f32_e32 v168, v17, v25
	v_fma_mixlo_f16 v137, s20, v136, 0
	s_delay_alu instid0(VALU_DEP_4) | instskip(SKIP_4) | instid1(VALU_DEP_3)
	v_fma_mixhi_f16 v134, s20, v138, 0
	scratch_load_b32 v138, off, off offset:32 th:TH_LOAD_LU ; 4-byte Folded Reload
	v_fma_mixlo_f16 v136, s20, v139, 0
	v_fma_mixlo_f16 v135, s20, v135, 0
	v_fma_mixhi_f16 v137, s20, v169, 0
	v_fma_mixhi_f16 v136, s20, v168, 0
	s_delay_alu instid0(VALU_DEP_3)
	v_fma_mixhi_f16 v135, s20, v140, 0
	s_wait_loadcnt 0x0
	global_store_b128 v138, v[134:137], s[0:1]
.LBB25_38:
	s_or_b32 exec_lo, exec_lo, s10
	v_dual_sub_f32 v134, v141, v144 :: v_dual_sub_f32 v135, v142, v143
	v_dual_sub_f32 v136, v128, v130 :: v_dual_sub_f32 v137, v145, v132
	;; [unrolled: 1-line block ×15, first 2 shown]
	v_dual_sub_f32 v182, v156, v164 :: v_dual_add_f32 v37, v134, v141
	v_dual_sub_f32 v216, v159, v167 :: v_dual_add_f32 v33, v138, v170
	v_dual_add_f32 v36, v135, v142 :: v_dual_add_f32 v35, v140, v172
	v_dual_add_f32 v38, v137, v169 :: v_dual_add_f32 v45, v174, v128
	v_dual_add_f32 v32, v136, v168 :: v_dual_add_f32 v39, v143, v173
	v_dual_add_f32 v34, v139, v171 :: v_dual_add_f32 v41, v178, v182
	v_dual_add_f32 v44, v175, v132 :: v_dual_add_f32 v43, v180, v215
	v_add_f32_e32 v46, v177, v145
	v_add_f32_e32 v40, v176, v144
	v_dual_add_f32 v42, v179, v183 :: v_dual_add_f32 v47, v181, v216
	s_and_saveexec_b32 s7, vcc_lo
	s_cbranch_execz .LBB25_40
; %bb.39:
	v_dual_add_f32 v48, v36, v44 :: v_dual_add_f32 v49, v38, v46
	s_delay_alu instid0(VALU_DEP_2) | instskip(SKIP_2) | instid1(VALU_DEP_3)
	v_dual_add_f32 v52, v37, v45 :: v_dual_add_f32 v53, v34, v42
	v_dual_add_f32 v50, v39, v47 :: v_dual_add_f32 v55, v33, v41
	s_wait_kmcnt 0x0
	v_fma_mixlo_f16 v48, s20, v48, 0
	v_add_f32_e32 v54, v32, v40
	v_add_f32_e32 v56, v35, v43
	v_fma_mixlo_f16 v51, s20, v50, 0
	v_fma_mixlo_f16 v50, s20, v53, 0
	v_fma_mixhi_f16 v48, s20, v52, 0
	scratch_load_b32 v52, off, off offset:12 th:TH_LOAD_LU ; 4-byte Folded Reload
	v_fma_mixlo_f16 v49, s20, v49, 0
	v_fma_mixhi_f16 v51, s20, v56, 0
	v_fma_mixhi_f16 v50, s20, v55, 0
	s_delay_alu instid0(VALU_DEP_3)
	v_fma_mixhi_f16 v49, s20, v54, 0
	s_wait_loadcnt 0x0
	global_store_b128 v52, v[48:51], s[0:1]
.LBB25_40:
	s_or_b32 exec_lo, exec_lo, s7
	v_dual_sub_f32 v52, v129, v184 :: v_dual_sub_f32 v53, v131, v185
	v_dual_sub_f32 v54, v133, v186 :: v_dual_sub_f32 v51, v151, v191
	;; [unrolled: 1-line block ×8, first 2 shown]
	s_and_saveexec_b32 s7, s2
	s_cbranch_execz .LBB25_42
; %bb.41:
	v_dual_add_f32 v76, v52, v64 :: v_dual_add_f32 v77, v54, v66
	s_delay_alu instid0(VALU_DEP_2) | instskip(SKIP_2) | instid1(VALU_DEP_3)
	v_dual_add_f32 v92, v53, v65 :: v_dual_add_f32 v93, v50, v58
	v_dual_add_f32 v78, v55, v67 :: v_dual_add_f32 v95, v49, v57
	s_wait_kmcnt 0x0
	v_fma_mixlo_f16 v76, s20, v76, 0
	v_dual_add_f32 v94, v48, v56 :: v_dual_add_f32 v129, v51, v59
	s_delay_alu instid0(VALU_DEP_3) | instskip(SKIP_1) | instid1(VALU_DEP_4)
	v_fma_mixlo_f16 v79, s20, v78, 0
	v_fma_mixlo_f16 v78, s20, v93, 0
	v_fma_mixhi_f16 v76, s20, v92, 0
	scratch_load_b32 v92, off, off offset:8 th:TH_LOAD_LU ; 4-byte Folded Reload
	v_fma_mixlo_f16 v77, s20, v77, 0
	v_fma_mixhi_f16 v79, s20, v129, 0
	v_fma_mixhi_f16 v78, s20, v95, 0
	s_delay_alu instid0(VALU_DEP_3)
	v_fma_mixhi_f16 v77, s20, v94, 0
	s_wait_loadcnt 0x0
	global_store_b128 v92, v[76:79], s[0:1]
.LBB25_42:
	s_or_b32 exec_lo, exec_lo, s7
	v_dual_sub_f32 v76, v146, v60 :: v_dual_sub_f32 v77, v208, v61
	v_dual_sub_f32 v78, v209, v62 :: v_dual_sub_f32 v79, v210, v63
	;; [unrolled: 1-line block ×8, first 2 shown]
	s_and_saveexec_b32 s2, s3
	s_cbranch_execz .LBB25_44
; %bb.43:
	v_dual_add_f32 v68, v76, v92 :: v_dual_add_f32 v69, v78, v94
	v_dual_add_f32 v80, v77, v93 :: v_dual_add_f32 v81, v60, v72
	;; [unrolled: 1-line block ×3, first 2 shown]
	s_wait_kmcnt 0x0
	s_delay_alu instid0(VALU_DEP_3)
	v_fma_mixlo_f16 v68, s20, v68, 0
	v_add_f32_e32 v82, v79, v95
	v_add_f32_e32 v84, v63, v75
	v_fma_mixlo_f16 v71, s20, v70, 0
	v_fma_mixlo_f16 v70, s20, v81, 0
	v_fma_mixhi_f16 v68, s20, v80, 0
	scratch_load_b32 v80, off, off offset:20 th:TH_LOAD_LU ; 4-byte Folded Reload
	v_fma_mixlo_f16 v69, s20, v69, 0
	v_fma_mixhi_f16 v71, s20, v84, 0
	v_fma_mixhi_f16 v70, s20, v83, 0
	s_delay_alu instid0(VALU_DEP_3)
	v_fma_mixhi_f16 v69, s20, v82, 0
	s_wait_loadcnt 0x0
	global_store_b128 v80, v[68:71], s[0:1]
.LBB25_44:
	s_or_b32 exec_lo, exec_lo, s2
	v_dual_sub_f32 v88, v96, v104 :: v_dual_sub_f32 v89, v97, v105
	v_dual_sub_f32 v90, v98, v106 :: v_dual_sub_f32 v91, v99, v107
	;; [unrolled: 1-line block ×8, first 2 shown]
	s_and_saveexec_b32 s2, s4
	s_cbranch_execz .LBB25_46
; %bb.45:
	v_dual_add_f32 v80, v88, v104 :: v_dual_add_f32 v81, v90, v106
	v_dual_add_f32 v96, v89, v105 :: v_dual_add_f32 v97, v68, v84
	;; [unrolled: 1-line block ×3, first 2 shown]
	s_wait_kmcnt 0x0
	s_delay_alu instid0(VALU_DEP_3)
	v_fma_mixlo_f16 v80, s20, v80, 0
	v_add_f32_e32 v98, v91, v107
	v_add_f32_e32 v100, v71, v87
	v_fma_mixlo_f16 v83, s20, v82, 0
	v_fma_mixlo_f16 v82, s20, v97, 0
	v_fma_mixhi_f16 v80, s20, v96, 0
	scratch_load_b32 v96, off, off offset:16 th:TH_LOAD_LU ; 4-byte Folded Reload
	v_fma_mixlo_f16 v81, s20, v81, 0
	v_fma_mixhi_f16 v83, s20, v100, 0
	v_fma_mixhi_f16 v82, s20, v99, 0
	s_delay_alu instid0(VALU_DEP_3)
	v_fma_mixhi_f16 v81, s20, v98, 0
	s_wait_loadcnt 0x0
	global_store_b128 v96, v[80:83], s[0:1]
.LBB25_46:
	s_or_b32 exec_lo, exec_lo, s2
	v_dual_sub_f32 v100, v134, v141 :: v_dual_sub_f32 v101, v135, v142
	v_dual_sub_f32 v102, v136, v168 :: v_dual_sub_f32 v103, v137, v169
	;; [unrolled: 1-line block ×8, first 2 shown]
	s_and_saveexec_b32 s2, s5
	s_cbranch_execnz .LBB25_56
; %bb.47:
	s_or_b32 exec_lo, exec_lo, s2
	s_and_saveexec_b32 s2, s6
	s_cbranch_execnz .LBB25_57
.LBB25_48:
	s_or_b32 exec_lo, exec_lo, s2
	s_and_saveexec_b32 s2, s8
	s_cbranch_execnz .LBB25_58
.LBB25_49:
	s_or_b32 exec_lo, exec_lo, s2
	s_and_saveexec_b32 s2, s9
	s_cbranch_execnz .LBB25_59
.LBB25_50:
	s_or_b32 exec_lo, exec_lo, s2
	s_and_saveexec_b32 s2, s11
	s_cbranch_execnz .LBB25_60
.LBB25_51:
	s_or_b32 exec_lo, exec_lo, s2
	s_and_saveexec_b32 s2, s12
	s_cbranch_execnz .LBB25_61
.LBB25_52:
	s_or_b32 exec_lo, exec_lo, s2
	s_and_saveexec_b32 s2, s13
	s_cbranch_execnz .LBB25_62
.LBB25_53:
	s_or_b32 exec_lo, exec_lo, s2
	s_and_saveexec_b32 s2, s14
	s_cbranch_execnz .LBB25_63
.LBB25_54:
	s_or_b32 exec_lo, exec_lo, s2
	s_and_saveexec_b32 s2, s15
	s_cbranch_execnz .LBB25_64
.LBB25_55:
	s_nop 0
	s_sendmsg sendmsg(MSG_DEALLOC_VGPRS)
	s_endpgm
.LBB25_56:
	v_dual_add_f32 v112, v101, v109 :: v_dual_add_f32 v113, v103, v111
	v_dual_add_f32 v116, v100, v108 :: v_dual_add_f32 v117, v81, v97
	;; [unrolled: 1-line block ×3, first 2 shown]
	s_wait_kmcnt 0x0
	s_delay_alu instid0(VALU_DEP_3)
	v_fma_mixlo_f16 v112, s20, v112, 0
	v_add_f32_e32 v118, v102, v110
	v_add_f32_e32 v120, v82, v98
	v_fma_mixlo_f16 v115, s20, v114, 0
	v_fma_mixlo_f16 v114, s20, v117, 0
	v_fma_mixhi_f16 v112, s20, v116, 0
	scratch_load_b32 v116, off, off offset:24 th:TH_LOAD_LU ; 4-byte Folded Reload
	v_fma_mixlo_f16 v113, s20, v113, 0
	v_fma_mixhi_f16 v115, s20, v120, 0
	v_fma_mixhi_f16 v114, s20, v119, 0
	s_delay_alu instid0(VALU_DEP_3)
	v_fma_mixhi_f16 v113, s20, v118, 0
	s_wait_loadcnt 0x0
	global_store_b128 v116, v[112:115], s[0:1]
	s_or_b32 exec_lo, exec_lo, s2
	s_and_saveexec_b32 s2, s6
	s_cbranch_execz .LBB25_48
.LBB25_57:
	s_clause 0x1
	scratch_load_b32 v112, off, off offset:88 th:TH_LOAD_LU
	scratch_load_b32 v113, off, off offset:120 th:TH_LOAD_LU
	s_wait_loadcnt 0x0
	v_sub_f32_e32 v112, v112, v113
	s_clause 0x1
	scratch_load_b32 v113, off, off offset:92 th:TH_LOAD_LU
	scratch_load_b32 v114, off, off offset:124 th:TH_LOAD_LU
	s_wait_loadcnt 0x0
	v_sub_f32_e32 v116, v113, v114
	;; [unrolled: 5-line block ×3, first 2 shown]
	s_clause 0x1
	scratch_load_b32 v114, off, off offset:100 th:TH_LOAD_LU
	scratch_load_b32 v115, off, off offset:132 th:TH_LOAD_LU
	s_wait_kmcnt 0x0
	v_fma_mixlo_f16 v112, s20, v112, 0
	v_fma_mixlo_f16 v113, s20, v113, 0
	s_wait_loadcnt 0x0
	v_sub_f32_e32 v114, v114, v115
	s_clause 0x1
	scratch_load_b32 v115, off, off offset:80 th:TH_LOAD_LU
	scratch_load_b32 v117, off, off offset:112 th:TH_LOAD_LU
	s_wait_loadcnt 0x0
	v_sub_f32_e32 v117, v115, v117
	s_clause 0x1
	scratch_load_b32 v115, off, off offset:72 th:TH_LOAD_LU
	scratch_load_b32 v118, off, off offset:104 th:TH_LOAD_LU
	v_fma_mixhi_f16 v112, s20, v116, 0
	s_wait_loadcnt 0x0
	v_sub_f32_e32 v118, v115, v118
	s_clause 0x1
	scratch_load_b32 v115, off, off offset:76 th:TH_LOAD_LU
	scratch_load_b32 v119, off, off offset:108 th:TH_LOAD_LU
	v_fma_mixhi_f16 v113, s20, v118, 0
	s_wait_loadcnt 0x0
	v_sub_f32_e32 v119, v115, v119
	s_clause 0x2
	scratch_load_b32 v115, off, off offset:84 th:TH_LOAD_LU
	scratch_load_b32 v120, off, off offset:116 th:TH_LOAD_LU
	;; [unrolled: 1-line block ×3, first 2 shown]
	s_wait_loadcnt 0x1
	v_sub_f32_e32 v120, v115, v120
	v_fma_mixlo_f16 v115, s20, v114, 0
	v_fma_mixlo_f16 v114, s20, v117, 0
	s_delay_alu instid0(VALU_DEP_2) | instskip(NEXT) | instid1(VALU_DEP_2)
	v_fma_mixhi_f16 v115, s20, v120, 0
	v_fma_mixhi_f16 v114, s20, v119, 0
	s_wait_loadcnt 0x0
	global_store_b128 v116, v[112:115], s[0:1]
	s_or_b32 exec_lo, exec_lo, s2
	s_and_saveexec_b32 s2, s8
	s_cbranch_execz .LBB25_49
.LBB25_58:
	v_dual_sub_f32 v4, v4, v12 :: v_dual_sub_f32 v5, v5, v13
	v_sub_f32_e32 v8, v0, v8
	v_dual_sub_f32 v6, v6, v14 :: v_dual_sub_f32 v7, v7, v15
	s_wait_kmcnt 0x0
	s_delay_alu instid0(VALU_DEP_3)
	v_fma_mixlo_f16 v0, s20, v4, 0
	scratch_load_b32 v4, off, off offset:36 th:TH_LOAD_LU ; 4-byte Folded Reload
	v_dual_sub_f32 v2, v2, v10 :: v_dual_sub_f32 v9, v1, v9
	v_sub_f32_e32 v10, v3, v11
	v_fma_mixlo_f16 v3, s20, v7, 0
	v_fma_mixlo_f16 v1, s20, v6, 0
	s_delay_alu instid0(VALU_DEP_4) | instskip(SKIP_1) | instid1(VALU_DEP_4)
	v_fma_mixlo_f16 v2, s20, v2, 0
	v_fma_mixhi_f16 v0, s20, v5, 0
	v_fma_mixhi_f16 v3, s20, v10, 0
	s_delay_alu instid0(VALU_DEP_4) | instskip(NEXT) | instid1(VALU_DEP_4)
	v_fma_mixhi_f16 v1, s20, v8, 0
	v_fma_mixhi_f16 v2, s20, v9, 0
	s_wait_loadcnt 0x0
	global_store_b128 v4, v[0:3], s[0:1]
	s_or_b32 exec_lo, exec_lo, s2
	s_and_saveexec_b32 s2, s9
	s_cbranch_execz .LBB25_50
.LBB25_59:
	v_dual_sub_f32 v0, v20, v28 :: v_dual_sub_f32 v1, v22, v30
	v_dual_sub_f32 v4, v21, v29 :: v_dual_sub_f32 v5, v18, v26
	;; [unrolled: 1-line block ×3, first 2 shown]
	s_wait_kmcnt 0x0
	s_delay_alu instid0(VALU_DEP_3)
	v_fma_mixlo_f16 v0, s20, v0, 0
	v_sub_f32_e32 v6, v16, v24
	v_sub_f32_e32 v8, v19, v27
	v_fma_mixlo_f16 v3, s20, v2, 0
	v_fma_mixlo_f16 v2, s20, v5, 0
	v_fma_mixhi_f16 v0, s20, v4, 0
	scratch_load_b32 v4, off, off offset:40 th:TH_LOAD_LU ; 4-byte Folded Reload
	v_fma_mixlo_f16 v1, s20, v1, 0
	v_fma_mixhi_f16 v3, s20, v8, 0
	v_fma_mixhi_f16 v2, s20, v7, 0
	s_delay_alu instid0(VALU_DEP_3)
	v_fma_mixhi_f16 v1, s20, v6, 0
	s_wait_loadcnt 0x0
	global_store_b128 v4, v[0:3], s[0:1]
	s_or_b32 exec_lo, exec_lo, s2
	s_and_saveexec_b32 s2, s11
	s_cbranch_execz .LBB25_51
.LBB25_60:
	v_dual_sub_f32 v0, v36, v44 :: v_dual_sub_f32 v1, v38, v46
	v_dual_sub_f32 v4, v37, v45 :: v_dual_sub_f32 v5, v34, v42
	;; [unrolled: 1-line block ×3, first 2 shown]
	s_wait_kmcnt 0x0
	s_delay_alu instid0(VALU_DEP_3)
	v_fma_mixlo_f16 v0, s20, v0, 0
	v_sub_f32_e32 v6, v32, v40
	v_sub_f32_e32 v8, v35, v43
	v_fma_mixlo_f16 v3, s20, v2, 0
	v_fma_mixlo_f16 v2, s20, v5, 0
	v_fma_mixhi_f16 v0, s20, v4, 0
	scratch_load_b32 v4, off, off offset:48 th:TH_LOAD_LU ; 4-byte Folded Reload
	v_fma_mixlo_f16 v1, s20, v1, 0
	v_fma_mixhi_f16 v3, s20, v8, 0
	v_fma_mixhi_f16 v2, s20, v7, 0
	s_delay_alu instid0(VALU_DEP_3)
	v_fma_mixhi_f16 v1, s20, v6, 0
	s_wait_loadcnt 0x0
	global_store_b128 v4, v[0:3], s[0:1]
	s_or_b32 exec_lo, exec_lo, s2
	s_and_saveexec_b32 s2, s12
	s_cbranch_execz .LBB25_52
.LBB25_61:
	v_dual_sub_f32 v0, v52, v64 :: v_dual_sub_f32 v1, v54, v66
	v_dual_sub_f32 v4, v53, v65 :: v_dual_sub_f32 v5, v50, v58
	;; [unrolled: 1-line block ×3, first 2 shown]
	s_wait_kmcnt 0x0
	s_delay_alu instid0(VALU_DEP_3)
	v_fma_mixlo_f16 v0, s20, v0, 0
	v_sub_f32_e32 v6, v48, v56
	v_sub_f32_e32 v8, v51, v59
	v_fma_mixlo_f16 v3, s20, v2, 0
	v_fma_mixlo_f16 v2, s20, v5, 0
	v_fma_mixhi_f16 v0, s20, v4, 0
	scratch_load_b32 v4, off, off offset:52 th:TH_LOAD_LU ; 4-byte Folded Reload
	v_fma_mixlo_f16 v1, s20, v1, 0
	v_fma_mixhi_f16 v3, s20, v8, 0
	v_fma_mixhi_f16 v2, s20, v7, 0
	s_delay_alu instid0(VALU_DEP_3)
	v_fma_mixhi_f16 v1, s20, v6, 0
	s_wait_loadcnt 0x0
	global_store_b128 v4, v[0:3], s[0:1]
	s_or_b32 exec_lo, exec_lo, s2
	s_and_saveexec_b32 s2, s13
	s_cbranch_execz .LBB25_53
.LBB25_62:
	scratch_load_b64 v[2:3], off, off offset:56 th:TH_LOAD_LU ; 8-byte Folded Reload
	v_dual_sub_f32 v0, v76, v92 :: v_dual_sub_f32 v1, v78, v94
	v_dual_sub_f32 v6, v77, v93 :: v_dual_sub_f32 v7, v79, v95
	v_dual_sub_f32 v8, v61, v73 :: v_dual_sub_f32 v9, v63, v75
	s_wait_kmcnt 0x0
	s_delay_alu instid0(VALU_DEP_3)
	v_fma_mixlo_f16 v0, s20, v0, 0
	v_fma_mixlo_f16 v1, s20, v1, 0
	v_mov_b32_e32 v5, 0
	s_wait_loadcnt 0x0
	v_sub_f32_e32 v3, v62, v74
	v_fma_mixhi_f16 v0, s20, v6, 0
	v_fma_mixhi_f16 v1, s20, v7, 0
	s_delay_alu instid0(VALU_DEP_3) | instskip(NEXT) | instid1(VALU_DEP_1)
	v_fma_mixlo_f16 v3, s20, v3, 0
	v_fma_mixhi_f16 v3, s20, v9, 0
	v_mov_b32_e32 v4, v2
	v_sub_f32_e32 v2, v60, v72
	s_delay_alu instid0(VALU_DEP_2) | instskip(NEXT) | instid1(VALU_DEP_2)
	v_lshlrev_b64_e32 v[4:5], 4, v[4:5]
	v_fma_mixlo_f16 v2, s20, v2, 0
	s_delay_alu instid0(VALU_DEP_1) | instskip(NEXT) | instid1(VALU_DEP_3)
	v_fma_mixhi_f16 v2, s20, v8, 0
	v_add_co_u32 v4, vcc_lo, s0, v4
	s_delay_alu instid0(VALU_DEP_1)
	v_add_co_ci_u32_e64 v5, null, s1, v5, vcc_lo
	global_store_b128 v[4:5], v[0:3], off
	s_or_b32 exec_lo, exec_lo, s2
	s_and_saveexec_b32 s2, s14
	s_cbranch_execz .LBB25_54
.LBB25_63:
	scratch_load_b64 v[2:3], off, off offset:64 th:TH_LOAD_LU ; 8-byte Folded Reload
	v_dual_sub_f32 v0, v88, v104 :: v_dual_sub_f32 v1, v90, v106
	v_dual_sub_f32 v6, v89, v105 :: v_dual_sub_f32 v7, v91, v107
	;; [unrolled: 1-line block ×3, first 2 shown]
	s_wait_kmcnt 0x0
	s_delay_alu instid0(VALU_DEP_3)
	v_fma_mixlo_f16 v0, s20, v0, 0
	v_fma_mixlo_f16 v1, s20, v1, 0
	v_mov_b32_e32 v5, 0
	s_wait_loadcnt 0x0
	v_sub_f32_e32 v3, v70, v86
	v_fma_mixhi_f16 v0, s20, v6, 0
	v_fma_mixhi_f16 v1, s20, v7, 0
	s_delay_alu instid0(VALU_DEP_3) | instskip(NEXT) | instid1(VALU_DEP_1)
	v_fma_mixlo_f16 v3, s20, v3, 0
	v_fma_mixhi_f16 v3, s20, v9, 0
	v_mov_b32_e32 v4, v2
	v_sub_f32_e32 v2, v68, v84
	s_delay_alu instid0(VALU_DEP_2) | instskip(NEXT) | instid1(VALU_DEP_2)
	v_lshlrev_b64_e32 v[4:5], 4, v[4:5]
	v_fma_mixlo_f16 v2, s20, v2, 0
	s_delay_alu instid0(VALU_DEP_1) | instskip(NEXT) | instid1(VALU_DEP_3)
	v_fma_mixhi_f16 v2, s20, v8, 0
	v_add_co_u32 v4, vcc_lo, s0, v4
	s_wait_alu 0xfffd
	s_delay_alu instid0(VALU_DEP_4)
	v_add_co_ci_u32_e64 v5, null, s1, v5, vcc_lo
	global_store_b128 v[4:5], v[0:3], off
	s_or_b32 exec_lo, exec_lo, s2
	s_and_saveexec_b32 s2, s15
	s_cbranch_execz .LBB25_55
.LBB25_64:
	scratch_load_b64 v[2:3], off, off th:TH_LOAD_LU ; 8-byte Folded Reload
	v_dual_sub_f32 v0, v101, v109 :: v_dual_sub_f32 v1, v103, v111
	v_dual_sub_f32 v6, v100, v108 :: v_dual_sub_f32 v7, v102, v110
	;; [unrolled: 1-line block ×3, first 2 shown]
	s_wait_kmcnt 0x0
	s_delay_alu instid0(VALU_DEP_3)
	v_fma_mixlo_f16 v0, s20, v0, 0
	v_fma_mixlo_f16 v1, s20, v1, 0
	v_mov_b32_e32 v5, 0
	s_wait_loadcnt 0x0
	v_sub_f32_e32 v3, v83, v99
	v_fma_mixhi_f16 v0, s20, v6, 0
	v_fma_mixhi_f16 v1, s20, v7, 0
	s_delay_alu instid0(VALU_DEP_3) | instskip(NEXT) | instid1(VALU_DEP_1)
	v_fma_mixlo_f16 v3, s20, v3, 0
	v_fma_mixhi_f16 v3, s20, v9, 0
	v_mov_b32_e32 v4, v2
	v_sub_f32_e32 v2, v81, v97
	s_delay_alu instid0(VALU_DEP_2) | instskip(NEXT) | instid1(VALU_DEP_2)
	v_lshlrev_b64_e32 v[4:5], 4, v[4:5]
	v_fma_mixlo_f16 v2, s20, v2, 0
	s_delay_alu instid0(VALU_DEP_1) | instskip(NEXT) | instid1(VALU_DEP_3)
	v_fma_mixhi_f16 v2, s20, v8, 0
	v_add_co_u32 v4, vcc_lo, s0, v4
	s_wait_alu 0xfffd
	s_delay_alu instid0(VALU_DEP_4)
	v_add_co_ci_u32_e64 v5, null, s1, v5, vcc_lo
	global_store_b128 v[4:5], v[0:3], off
	s_nop 0
	s_sendmsg sendmsg(MSG_DEALLOC_VGPRS)
	s_endpgm
	.section	.rodata,"a",@progbits
	.p2align	6, 0x0
	.amdhsa_kernel _Z30fast_hadamard_transform_kernelI37fast_hadamard_transform_kernel_traitsILi256ELi15E6__halfEEv18HadamardParamsBase
		.amdhsa_group_segment_fixed_size 0
		.amdhsa_private_segment_fixed_size 140
		.amdhsa_kernarg_size 312
		.amdhsa_user_sgpr_count 2
		.amdhsa_user_sgpr_dispatch_ptr 0
		.amdhsa_user_sgpr_queue_ptr 0
		.amdhsa_user_sgpr_kernarg_segment_ptr 1
		.amdhsa_user_sgpr_dispatch_id 0
		.amdhsa_user_sgpr_private_segment_size 0
		.amdhsa_wavefront_size32 1
		.amdhsa_uses_dynamic_stack 0
		.amdhsa_enable_private_segment 1
		.amdhsa_system_sgpr_workgroup_id_x 1
		.amdhsa_system_sgpr_workgroup_id_y 0
		.amdhsa_system_sgpr_workgroup_id_z 0
		.amdhsa_system_sgpr_workgroup_info 0
		.amdhsa_system_vgpr_workitem_id 0
		.amdhsa_next_free_vgpr 256
		.amdhsa_next_free_sgpr 30
		.amdhsa_reserve_vcc 1
		.amdhsa_float_round_mode_32 0
		.amdhsa_float_round_mode_16_64 0
		.amdhsa_float_denorm_mode_32 3
		.amdhsa_float_denorm_mode_16_64 3
		.amdhsa_fp16_overflow 0
		.amdhsa_workgroup_processor_mode 1
		.amdhsa_memory_ordered 1
		.amdhsa_forward_progress 1
		.amdhsa_inst_pref_size 255
		.amdhsa_round_robin_scheduling 0
		.amdhsa_exception_fp_ieee_invalid_op 0
		.amdhsa_exception_fp_denorm_src 0
		.amdhsa_exception_fp_ieee_div_zero 0
		.amdhsa_exception_fp_ieee_overflow 0
		.amdhsa_exception_fp_ieee_underflow 0
		.amdhsa_exception_fp_ieee_inexact 0
		.amdhsa_exception_int_div_zero 0
	.end_amdhsa_kernel
	.section	.text._Z30fast_hadamard_transform_kernelI37fast_hadamard_transform_kernel_traitsILi256ELi15E6__halfEEv18HadamardParamsBase,"axG",@progbits,_Z30fast_hadamard_transform_kernelI37fast_hadamard_transform_kernel_traitsILi256ELi15E6__halfEEv18HadamardParamsBase,comdat
.Lfunc_end25:
	.size	_Z30fast_hadamard_transform_kernelI37fast_hadamard_transform_kernel_traitsILi256ELi15E6__halfEEv18HadamardParamsBase, .Lfunc_end25-_Z30fast_hadamard_transform_kernelI37fast_hadamard_transform_kernel_traitsILi256ELi15E6__halfEEv18HadamardParamsBase
                                        ; -- End function
	.set _Z30fast_hadamard_transform_kernelI37fast_hadamard_transform_kernel_traitsILi256ELi15E6__halfEEv18HadamardParamsBase.num_vgpr, 256
	.set _Z30fast_hadamard_transform_kernelI37fast_hadamard_transform_kernel_traitsILi256ELi15E6__halfEEv18HadamardParamsBase.num_agpr, 0
	.set _Z30fast_hadamard_transform_kernelI37fast_hadamard_transform_kernel_traitsILi256ELi15E6__halfEEv18HadamardParamsBase.numbered_sgpr, 30
	.set _Z30fast_hadamard_transform_kernelI37fast_hadamard_transform_kernel_traitsILi256ELi15E6__halfEEv18HadamardParamsBase.num_named_barrier, 0
	.set _Z30fast_hadamard_transform_kernelI37fast_hadamard_transform_kernel_traitsILi256ELi15E6__halfEEv18HadamardParamsBase.private_seg_size, 140
	.set _Z30fast_hadamard_transform_kernelI37fast_hadamard_transform_kernel_traitsILi256ELi15E6__halfEEv18HadamardParamsBase.uses_vcc, 1
	.set _Z30fast_hadamard_transform_kernelI37fast_hadamard_transform_kernel_traitsILi256ELi15E6__halfEEv18HadamardParamsBase.uses_flat_scratch, 1
	.set _Z30fast_hadamard_transform_kernelI37fast_hadamard_transform_kernel_traitsILi256ELi15E6__halfEEv18HadamardParamsBase.has_dyn_sized_stack, 0
	.set _Z30fast_hadamard_transform_kernelI37fast_hadamard_transform_kernel_traitsILi256ELi15E6__halfEEv18HadamardParamsBase.has_recursion, 0
	.set _Z30fast_hadamard_transform_kernelI37fast_hadamard_transform_kernel_traitsILi256ELi15E6__halfEEv18HadamardParamsBase.has_indirect_call, 0
	.section	.AMDGPU.csdata,"",@progbits
; Kernel info:
; codeLenInByte = 33212
; TotalNumSgprs: 32
; NumVgprs: 256
; ScratchSize: 140
; MemoryBound: 0
; FloatMode: 240
; IeeeMode: 1
; LDSByteSize: 0 bytes/workgroup (compile time only)
; SGPRBlocks: 0
; VGPRBlocks: 31
; NumSGPRsForWavesPerEU: 32
; NumVGPRsForWavesPerEU: 256
; Occupancy: 5
; WaveLimiterHint : 0
; COMPUTE_PGM_RSRC2:SCRATCH_EN: 1
; COMPUTE_PGM_RSRC2:USER_SGPR: 2
; COMPUTE_PGM_RSRC2:TRAP_HANDLER: 0
; COMPUTE_PGM_RSRC2:TGID_X_EN: 1
; COMPUTE_PGM_RSRC2:TGID_Y_EN: 0
; COMPUTE_PGM_RSRC2:TGID_Z_EN: 0
; COMPUTE_PGM_RSRC2:TIDIG_COMP_CNT: 0
	.section	.text._Z30fast_hadamard_transform_kernelI37fast_hadamard_transform_kernel_traitsILi1ELi3E14__hip_bfloat16EEv18HadamardParamsBase,"axG",@progbits,_Z30fast_hadamard_transform_kernelI37fast_hadamard_transform_kernel_traitsILi1ELi3E14__hip_bfloat16EEv18HadamardParamsBase,comdat
	.protected	_Z30fast_hadamard_transform_kernelI37fast_hadamard_transform_kernel_traitsILi1ELi3E14__hip_bfloat16EEv18HadamardParamsBase ; -- Begin function _Z30fast_hadamard_transform_kernelI37fast_hadamard_transform_kernel_traitsILi1ELi3E14__hip_bfloat16EEv18HadamardParamsBase
	.globl	_Z30fast_hadamard_transform_kernelI37fast_hadamard_transform_kernel_traitsILi1ELi3E14__hip_bfloat16EEv18HadamardParamsBase
	.p2align	8
	.type	_Z30fast_hadamard_transform_kernelI37fast_hadamard_transform_kernel_traitsILi1ELi3E14__hip_bfloat16EEv18HadamardParamsBase,@function
_Z30fast_hadamard_transform_kernelI37fast_hadamard_transform_kernel_traitsILi1ELi3E14__hip_bfloat16EEv18HadamardParamsBase: ; @_Z30fast_hadamard_transform_kernelI37fast_hadamard_transform_kernel_traitsILi1ELi3E14__hip_bfloat16EEv18HadamardParamsBase
; %bb.0:
	s_load_b32 s2, s[0:1], 0x4
	s_wait_kmcnt 0x0
	s_cmp_eq_u32 s2, 0
	s_cbranch_scc1 .LBB26_2
; %bb.1:
	s_clause 0x1
	s_load_b128 s[8:11], s[0:1], 0x10
	s_load_b128 s[4:7], s[0:1], 0x28
	s_mov_b32 s12, ttmp9
	s_ashr_i32 s13, ttmp9, 31
	s_load_b32 s14, s[0:1], 0x20
	s_wait_kmcnt 0x0
	s_mul_u64 s[0:1], s[8:9], s[12:13]
	s_delay_alu instid0(SALU_CYCLE_1) | instskip(NEXT) | instid1(SALU_CYCLE_1)
	s_lshl_b64 s[0:1], s[0:1], 1
	s_add_nc_u64 s[0:1], s[4:5], s[0:1]
	s_load_b128 s[0:3], s[0:1], 0x0
	s_wait_kmcnt 0x0
	s_lshl_b32 s4, s0, 16
	s_and_b32 s5, s0, 0xffff0000
	s_lshl_b32 s8, s1, 16
	s_and_b32 s9, s1, 0xffff0000
	;; [unrolled: 2-line block ×4, first 2 shown]
	s_sub_f32 s17, s4, s5
	s_sub_f32 s18, s8, s9
	;; [unrolled: 1-line block ×4, first 2 shown]
	s_mul_u64 s[0:1], s[10:11], s[12:13]
	s_add_f32 s4, s4, s5
	s_sub_f32 s5, s17, s18
	s_sub_f32 s10, s19, s20
	s_add_f32 s8, s8, s9
	s_add_f32 s2, s15, s2
	s_add_f32 s3, s16, s3
	s_sub_f32 s9, s5, s10
	s_sub_f32 s11, s4, s8
	s_add_f32 s4, s4, s8
	s_sub_f32 s12, s2, s3
	s_mul_f32 s9, s14, s9
	s_lshl_b64 s[0:1], s[0:1], 1
	s_add_f32 s13, s17, s18
	s_sub_f32 s16, s11, s12
	s_bfe_u32 s8, s9, 0x10010
	s_or_b32 s17, s9, 0x400000
	s_add_co_i32 s8, s8, s9
	s_add_f32 s15, s19, s20
	s_addk_co_i32 s8, 0x7fff
	s_cmp_u_f32 s9, s9
	s_mul_f32 s9, s14, s16
	s_add_f32 s2, s2, s3
	s_sub_f32 s3, s13, s15
	s_cselect_b32 s8, s17, s8
	s_bfe_u32 s16, s9, 0x10010
	s_or_b32 s17, s9, 0x400000
	s_add_co_i32 s16, s16, s9
	s_lshr_b32 s8, s8, 16
	s_addk_co_i32 s16, 0x7fff
	s_cmp_u_f32 s9, s9
	s_mul_f32 s3, s14, s3
	s_sub_f32 s9, s4, s2
	s_add_f32 s5, s5, s10
	s_cselect_b32 s16, s17, s16
	s_bfe_u32 s17, s3, 0x10010
	s_or_b32 s18, s3, 0x400000
	s_add_co_i32 s17, s17, s3
	s_lshr_b32 s16, s16, 16
	s_addk_co_i32 s17, 0x7fff
	s_cmp_u_f32 s3, s3
	s_mul_f32 s3, s14, s9
	s_add_f32 s2, s4, s2
	s_add_nc_u64 s[0:1], s[6:7], s[0:1]
	s_cselect_b32 s9, s18, s17
	s_bfe_u32 s10, s3, 0x10010
	s_or_b32 s17, s3, 0x400000
	s_add_co_i32 s10, s10, s3
	s_lshr_b32 s9, s9, 16
	s_addk_co_i32 s10, 0x7fff
	s_cmp_u_f32 s3, s3
	s_mul_f32 s3, s14, s5
	s_add_f32 s5, s11, s12
	s_mul_f32 s2, s14, s2
	s_cselect_b32 s10, s17, s10
	s_bfe_u32 s11, s3, 0x10010
	s_or_b32 s12, s3, 0x400000
	s_add_co_i32 s11, s11, s3
	s_lshr_b32 s10, s10, 16
	s_addk_co_i32 s11, 0x7fff
	s_cmp_u_f32 s3, s3
	s_mul_f32 s3, s14, s5
	s_add_f32 s5, s13, s15
	s_cselect_b32 s11, s12, s11
	s_delay_alu instid0(SALU_CYCLE_1)
	s_bfe_u32 s12, s3, 0x10010
	s_or_b32 s13, s3, 0x400000
	s_add_co_i32 s12, s12, s3
	s_lshr_b32 s11, s11, 16
	s_addk_co_i32 s12, 0x7fff
	s_cmp_u_f32 s3, s3
	s_mul_f32 s3, s14, s5
	s_cselect_b32 s4, s13, s12
	s_delay_alu instid0(SALU_CYCLE_2)
	s_bfe_u32 s5, s3, 0x10010
	s_or_b32 s12, s3, 0x400000
	s_add_co_i32 s5, s5, s3
	s_lshr_b32 s4, s4, 16
	s_addk_co_i32 s5, 0x7fff
	s_cmp_u_f32 s3, s3
	s_pack_ll_b32_b16 s4, s4, s11
	s_delay_alu instid0(SALU_CYCLE_1)
	v_dual_mov_b32 v4, 0 :: v_dual_mov_b32 v1, s4
	s_cselect_b32 s3, s12, s5
	s_bfe_u32 s5, s2, 0x10010
	s_or_b32 s12, s2, 0x400000
	s_wait_alu 0xfffe
	s_add_co_i32 s5, s5, s2
	s_lshr_b32 s3, s3, 16
	s_wait_alu 0xfffe
	s_addk_co_i32 s5, 0x7fff
	s_cmp_u_f32 s2, s2
	s_pack_ll_b32_b16 s2, s16, s8
	s_pack_ll_b32_b16 s8, s10, s9
	s_delay_alu instid0(SALU_CYCLE_1)
	v_dual_mov_b32 v3, s2 :: v_dual_mov_b32 v2, s8
	s_wait_alu 0xfffe
	s_cselect_b32 s5, s12, s5
	s_wait_alu 0xfffe
	s_lshr_b32 s5, s5, 16
	s_wait_alu 0xfffe
	s_pack_ll_b32_b16 s3, s5, s3
	s_wait_alu 0xfffe
	v_mov_b32_e32 v0, s3
	global_store_b128 v4, v[0:3], s[0:1]
.LBB26_2:
	s_endpgm
	.section	.rodata,"a",@progbits
	.p2align	6, 0x0
	.amdhsa_kernel _Z30fast_hadamard_transform_kernelI37fast_hadamard_transform_kernel_traitsILi1ELi3E14__hip_bfloat16EEv18HadamardParamsBase
		.amdhsa_group_segment_fixed_size 0
		.amdhsa_private_segment_fixed_size 0
		.amdhsa_kernarg_size 56
		.amdhsa_user_sgpr_count 2
		.amdhsa_user_sgpr_dispatch_ptr 0
		.amdhsa_user_sgpr_queue_ptr 0
		.amdhsa_user_sgpr_kernarg_segment_ptr 1
		.amdhsa_user_sgpr_dispatch_id 0
		.amdhsa_user_sgpr_private_segment_size 0
		.amdhsa_wavefront_size32 1
		.amdhsa_uses_dynamic_stack 0
		.amdhsa_enable_private_segment 0
		.amdhsa_system_sgpr_workgroup_id_x 1
		.amdhsa_system_sgpr_workgroup_id_y 0
		.amdhsa_system_sgpr_workgroup_id_z 0
		.amdhsa_system_sgpr_workgroup_info 0
		.amdhsa_system_vgpr_workitem_id 0
		.amdhsa_next_free_vgpr 5
		.amdhsa_next_free_sgpr 21
		.amdhsa_reserve_vcc 0
		.amdhsa_float_round_mode_32 0
		.amdhsa_float_round_mode_16_64 0
		.amdhsa_float_denorm_mode_32 3
		.amdhsa_float_denorm_mode_16_64 3
		.amdhsa_fp16_overflow 0
		.amdhsa_workgroup_processor_mode 1
		.amdhsa_memory_ordered 1
		.amdhsa_forward_progress 1
		.amdhsa_inst_pref_size 6
		.amdhsa_round_robin_scheduling 0
		.amdhsa_exception_fp_ieee_invalid_op 0
		.amdhsa_exception_fp_denorm_src 0
		.amdhsa_exception_fp_ieee_div_zero 0
		.amdhsa_exception_fp_ieee_overflow 0
		.amdhsa_exception_fp_ieee_underflow 0
		.amdhsa_exception_fp_ieee_inexact 0
		.amdhsa_exception_int_div_zero 0
	.end_amdhsa_kernel
	.section	.text._Z30fast_hadamard_transform_kernelI37fast_hadamard_transform_kernel_traitsILi1ELi3E14__hip_bfloat16EEv18HadamardParamsBase,"axG",@progbits,_Z30fast_hadamard_transform_kernelI37fast_hadamard_transform_kernel_traitsILi1ELi3E14__hip_bfloat16EEv18HadamardParamsBase,comdat
.Lfunc_end26:
	.size	_Z30fast_hadamard_transform_kernelI37fast_hadamard_transform_kernel_traitsILi1ELi3E14__hip_bfloat16EEv18HadamardParamsBase, .Lfunc_end26-_Z30fast_hadamard_transform_kernelI37fast_hadamard_transform_kernel_traitsILi1ELi3E14__hip_bfloat16EEv18HadamardParamsBase
                                        ; -- End function
	.set _Z30fast_hadamard_transform_kernelI37fast_hadamard_transform_kernel_traitsILi1ELi3E14__hip_bfloat16EEv18HadamardParamsBase.num_vgpr, 5
	.set _Z30fast_hadamard_transform_kernelI37fast_hadamard_transform_kernel_traitsILi1ELi3E14__hip_bfloat16EEv18HadamardParamsBase.num_agpr, 0
	.set _Z30fast_hadamard_transform_kernelI37fast_hadamard_transform_kernel_traitsILi1ELi3E14__hip_bfloat16EEv18HadamardParamsBase.numbered_sgpr, 21
	.set _Z30fast_hadamard_transform_kernelI37fast_hadamard_transform_kernel_traitsILi1ELi3E14__hip_bfloat16EEv18HadamardParamsBase.num_named_barrier, 0
	.set _Z30fast_hadamard_transform_kernelI37fast_hadamard_transform_kernel_traitsILi1ELi3E14__hip_bfloat16EEv18HadamardParamsBase.private_seg_size, 0
	.set _Z30fast_hadamard_transform_kernelI37fast_hadamard_transform_kernel_traitsILi1ELi3E14__hip_bfloat16EEv18HadamardParamsBase.uses_vcc, 0
	.set _Z30fast_hadamard_transform_kernelI37fast_hadamard_transform_kernel_traitsILi1ELi3E14__hip_bfloat16EEv18HadamardParamsBase.uses_flat_scratch, 0
	.set _Z30fast_hadamard_transform_kernelI37fast_hadamard_transform_kernel_traitsILi1ELi3E14__hip_bfloat16EEv18HadamardParamsBase.has_dyn_sized_stack, 0
	.set _Z30fast_hadamard_transform_kernelI37fast_hadamard_transform_kernel_traitsILi1ELi3E14__hip_bfloat16EEv18HadamardParamsBase.has_recursion, 0
	.set _Z30fast_hadamard_transform_kernelI37fast_hadamard_transform_kernel_traitsILi1ELi3E14__hip_bfloat16EEv18HadamardParamsBase.has_indirect_call, 0
	.section	.AMDGPU.csdata,"",@progbits
; Kernel info:
; codeLenInByte = 656
; TotalNumSgprs: 21
; NumVgprs: 5
; ScratchSize: 0
; MemoryBound: 0
; FloatMode: 240
; IeeeMode: 1
; LDSByteSize: 0 bytes/workgroup (compile time only)
; SGPRBlocks: 0
; VGPRBlocks: 0
; NumSGPRsForWavesPerEU: 21
; NumVGPRsForWavesPerEU: 5
; Occupancy: 16
; WaveLimiterHint : 0
; COMPUTE_PGM_RSRC2:SCRATCH_EN: 0
; COMPUTE_PGM_RSRC2:USER_SGPR: 2
; COMPUTE_PGM_RSRC2:TRAP_HANDLER: 0
; COMPUTE_PGM_RSRC2:TGID_X_EN: 1
; COMPUTE_PGM_RSRC2:TGID_Y_EN: 0
; COMPUTE_PGM_RSRC2:TGID_Z_EN: 0
; COMPUTE_PGM_RSRC2:TIDIG_COMP_CNT: 0
	.section	.text._Z30fast_hadamard_transform_kernelI37fast_hadamard_transform_kernel_traitsILi2ELi4E14__hip_bfloat16EEv18HadamardParamsBase,"axG",@progbits,_Z30fast_hadamard_transform_kernelI37fast_hadamard_transform_kernel_traitsILi2ELi4E14__hip_bfloat16EEv18HadamardParamsBase,comdat
	.protected	_Z30fast_hadamard_transform_kernelI37fast_hadamard_transform_kernel_traitsILi2ELi4E14__hip_bfloat16EEv18HadamardParamsBase ; -- Begin function _Z30fast_hadamard_transform_kernelI37fast_hadamard_transform_kernel_traitsILi2ELi4E14__hip_bfloat16EEv18HadamardParamsBase
	.globl	_Z30fast_hadamard_transform_kernelI37fast_hadamard_transform_kernel_traitsILi2ELi4E14__hip_bfloat16EEv18HadamardParamsBase
	.p2align	8
	.type	_Z30fast_hadamard_transform_kernelI37fast_hadamard_transform_kernel_traitsILi2ELi4E14__hip_bfloat16EEv18HadamardParamsBase,@function
_Z30fast_hadamard_transform_kernelI37fast_hadamard_transform_kernel_traitsILi2ELi4E14__hip_bfloat16EEv18HadamardParamsBase: ; @_Z30fast_hadamard_transform_kernelI37fast_hadamard_transform_kernel_traitsILi2ELi4E14__hip_bfloat16EEv18HadamardParamsBase
; %bb.0:
	s_load_b32 s2, s[0:1], 0x4
	v_dual_mov_b32 v6, 0 :: v_dual_lshlrev_b32 v9, 3, v0
	v_dual_mov_b32 v2, 0 :: v_dual_mov_b32 v3, 0
	v_dual_mov_b32 v4, 0 :: v_dual_mov_b32 v5, 0
	;; [unrolled: 1-line block ×3, first 2 shown]
	v_lshlrev_b32_e32 v1, 4, v0
	s_mov_b32 s8, ttmp9
	s_ashr_i32 s9, ttmp9, 31
	s_wait_kmcnt 0x0
	v_cmp_gt_u32_e32 vcc_lo, s2, v9
	v_mov_b32_e32 v9, 0
	s_and_saveexec_b32 s2, vcc_lo
	s_cbranch_execz .LBB27_2
; %bb.1:
	s_clause 0x1
	s_load_b64 s[4:5], s[0:1], 0x10
	s_load_b64 s[6:7], s[0:1], 0x28
	s_wait_kmcnt 0x0
	s_mul_u64 s[4:5], s[4:5], s[8:9]
	s_delay_alu instid0(SALU_CYCLE_1) | instskip(NEXT) | instid1(SALU_CYCLE_1)
	s_lshl_b64 s[4:5], s[4:5], 1
	s_add_nc_u64 s[4:5], s[6:7], s[4:5]
	global_load_b128 v[10:13], v1, s[4:5]
	s_wait_loadcnt 0x0
	v_lshlrev_b32_e32 v9, 16, v10
	v_and_b32_e32 v8, 0xffff0000, v10
	v_lshlrev_b32_e32 v7, 16, v11
	v_and_b32_e32 v6, 0xffff0000, v11
	;; [unrolled: 2-line block ×4, first 2 shown]
.LBB27_2:
	s_wait_alu 0xfffe
	s_or_b32 exec_lo, exec_lo, s2
	v_add_f32_e32 v10, v8, v9
	v_dual_sub_f32 v8, v9, v8 :: v_dual_add_f32 v9, v6, v7
	v_dual_sub_f32 v6, v7, v6 :: v_dual_add_f32 v7, v4, v5
	;; [unrolled: 1-line block ×3, first 2 shown]
	v_sub_f32_e32 v2, v3, v2
	v_mbcnt_lo_u32_b32 v3, -1, 0
	v_dual_add_f32 v11, v9, v10 :: v_dual_sub_f32 v10, v10, v9
	v_dual_add_f32 v9, v6, v8 :: v_dual_sub_f32 v6, v8, v6
	s_delay_alu instid0(VALU_DEP_3) | instskip(SKIP_2) | instid1(VALU_DEP_3)
	v_xor_b32_e32 v8, 1, v3
	v_dual_add_f32 v12, v5, v7 :: v_dual_sub_f32 v5, v7, v5
	v_add_f32_e32 v7, v2, v4
	v_cmp_gt_i32_e64 s2, 32, v8
	s_delay_alu instid0(VALU_DEP_3) | instskip(SKIP_1) | instid1(VALU_DEP_2)
	v_sub_f32_e32 v15, v10, v5
	s_wait_alu 0xf1ff
	v_cndmask_b32_e64 v3, v3, v8, s2
	v_sub_f32_e32 v14, v4, v2
	v_add_f32_e32 v2, v12, v11
	s_delay_alu instid0(VALU_DEP_3) | instskip(NEXT) | instid1(VALU_DEP_3)
	v_dual_add_f32 v4, v7, v9 :: v_dual_lshlrev_b32 v17, 2, v3
	v_dual_sub_f32 v8, v11, v12 :: v_dual_add_f32 v13, v14, v6
	v_sub_f32_e32 v12, v9, v7
	v_add_f32_e32 v9, v5, v10
	v_sub_f32_e32 v16, v6, v14
	ds_bpermute_b32 v3, v17, v2
	ds_bpermute_b32 v5, v17, v4
	;; [unrolled: 1-line block ×8, first 2 shown]
	s_and_saveexec_b32 s2, vcc_lo
	s_cbranch_execz .LBB27_4
; %bb.3:
	s_load_b96 s[4:6], s[0:1], 0x18
	v_cmp_eq_u32_e32 vcc_lo, 0, v0
	s_load_b64 s[0:1], s[0:1], 0x30
	v_cndmask_b32_e64 v15, -v15, v15, vcc_lo
	v_cndmask_b32_e64 v12, -v12, v12, vcc_lo
	;; [unrolled: 1-line block ×5, first 2 shown]
	s_wait_dscnt 0x1
	v_dual_add_f32 v14, v15, v14 :: v_dual_add_f32 v11, v12, v11
	v_add_f32_e32 v8, v8, v10
	v_add_f32_e32 v4, v4, v5
	v_cndmask_b32_e64 v2, -v2, v2, vcc_lo
	v_cndmask_b32_e64 v13, -v13, v13, vcc_lo
	s_wait_dscnt 0x0
	v_add_f32_e32 v0, v0, v17
	v_cndmask_b32_e64 v9, -v9, v9, vcc_lo
	s_wait_kmcnt 0x0
	v_mul_f32_e32 v5, s6, v11
	s_delay_alu instid0(VALU_DEP_3)
	v_dual_add_f32 v7, v13, v7 :: v_dual_mul_f32 v0, s6, v0
	s_mul_u64 s[2:3], s[4:5], s[8:9]
	s_wait_alu 0xfffe
	s_lshl_b64 s[2:3], s[2:3], 1
	v_bfe_u32 v12, v5, 16, 1
	v_mul_f32_e32 v7, s6, v7
	v_or_b32_e32 v10, 0x400000, v0
	v_cmp_u_f32_e32 vcc_lo, v0, v0
	s_wait_alu 0xfffe
	s_add_nc_u64 s[0:1], s[0:1], s[2:3]
	v_add3_u32 v12, v12, v5, 0x7fff
	v_dual_add_f32 v2, v2, v3 :: v_dual_mul_f32 v3, s6, v14
	v_mul_f32_e32 v4, s6, v4
	s_delay_alu instid0(VALU_DEP_2) | instskip(SKIP_1) | instid1(VALU_DEP_2)
	v_bfe_u32 v11, v3, 16, 1
	v_or_b32_e32 v13, 0x400000, v3
	v_add3_u32 v11, v11, v3, 0x7fff
	v_add_f32_e32 v6, v9, v6
	v_bfe_u32 v9, v0, 16, 1
	s_delay_alu instid0(VALU_DEP_1) | instskip(SKIP_1) | instid1(VALU_DEP_1)
	v_add3_u32 v9, v9, v0, 0x7fff
	s_wait_alu 0xfffd
	v_cndmask_b32_e32 v0, v9, v10, vcc_lo
	v_cmp_u_f32_e32 vcc_lo, v3, v3
	v_or_b32_e32 v9, 0x400000, v5
	s_wait_alu 0xfffd
	v_cndmask_b32_e32 v3, v11, v13, vcc_lo
	v_cmp_u_f32_e32 vcc_lo, v5, v5
	v_bfe_u32 v5, v7, 16, 1
	v_mul_f32_e32 v6, s6, v6
	v_or_b32_e32 v13, 0x400000, v4
	s_wait_alu 0xfffd
	v_cndmask_b32_e32 v9, v12, v9, vcc_lo
	v_add3_u32 v5, v5, v7, 0x7fff
	v_mul_f32_e32 v8, s6, v8
	v_mul_f32_e32 v2, s6, v2
	v_bfe_u32 v12, v4, 16, 1
	s_delay_alu instid0(VALU_DEP_3) | instskip(SKIP_2) | instid1(VALU_DEP_4)
	v_bfe_u32 v14, v8, 16, 1
	v_or_b32_e32 v11, 0x400000, v8
	v_cmp_u_f32_e32 vcc_lo, v8, v8
	v_add3_u32 v12, v12, v4, 0x7fff
	s_delay_alu instid0(VALU_DEP_4) | instskip(SKIP_2) | instid1(VALU_DEP_2)
	v_add3_u32 v10, v14, v8, 0x7fff
	v_or_b32_e32 v14, 0x400000, v2
	s_wait_alu 0xfffd
	v_cndmask_b32_e32 v8, v10, v11, vcc_lo
	v_or_b32_e32 v10, 0x400000, v7
	v_bfe_u32 v11, v6, 16, 1
	v_cmp_u_f32_e32 vcc_lo, v7, v7
	s_wait_alu 0xfffd
	s_delay_alu instid0(VALU_DEP_3) | instskip(NEXT) | instid1(VALU_DEP_3)
	v_cndmask_b32_e32 v7, v5, v10, vcc_lo
	v_add3_u32 v10, v11, v6, 0x7fff
	v_or_b32_e32 v11, 0x400000, v6
	v_cmp_u_f32_e32 vcc_lo, v6, v6
	v_bfe_u32 v5, v2, 16, 1
	s_wait_alu 0xfffd
	s_delay_alu instid0(VALU_DEP_3) | instskip(SKIP_1) | instid1(VALU_DEP_3)
	v_cndmask_b32_e32 v6, v10, v11, vcc_lo
	v_cmp_u_f32_e32 vcc_lo, v4, v4
	v_add3_u32 v5, v5, v2, 0x7fff
	v_perm_b32 v4, v9, v8, 0x7060302
	s_wait_alu 0xfffd
	v_cndmask_b32_e32 v10, v12, v13, vcc_lo
	v_cmp_u_f32_e32 vcc_lo, v2, v2
	s_wait_alu 0xfffd
	v_cndmask_b32_e32 v2, v5, v14, vcc_lo
	v_perm_b32 v5, v0, v3, 0x7060302
	v_perm_b32 v3, v7, v6, 0x7060302
	s_delay_alu instid0(VALU_DEP_3)
	v_perm_b32 v2, v10, v2, 0x7060302
	global_store_b128 v1, v[2:5], s[0:1]
.LBB27_4:
	s_endpgm
	.section	.rodata,"a",@progbits
	.p2align	6, 0x0
	.amdhsa_kernel _Z30fast_hadamard_transform_kernelI37fast_hadamard_transform_kernel_traitsILi2ELi4E14__hip_bfloat16EEv18HadamardParamsBase
		.amdhsa_group_segment_fixed_size 0
		.amdhsa_private_segment_fixed_size 0
		.amdhsa_kernarg_size 56
		.amdhsa_user_sgpr_count 2
		.amdhsa_user_sgpr_dispatch_ptr 0
		.amdhsa_user_sgpr_queue_ptr 0
		.amdhsa_user_sgpr_kernarg_segment_ptr 1
		.amdhsa_user_sgpr_dispatch_id 0
		.amdhsa_user_sgpr_private_segment_size 0
		.amdhsa_wavefront_size32 1
		.amdhsa_uses_dynamic_stack 0
		.amdhsa_enable_private_segment 0
		.amdhsa_system_sgpr_workgroup_id_x 1
		.amdhsa_system_sgpr_workgroup_id_y 0
		.amdhsa_system_sgpr_workgroup_id_z 0
		.amdhsa_system_sgpr_workgroup_info 0
		.amdhsa_system_vgpr_workitem_id 0
		.amdhsa_next_free_vgpr 18
		.amdhsa_next_free_sgpr 10
		.amdhsa_reserve_vcc 1
		.amdhsa_float_round_mode_32 0
		.amdhsa_float_round_mode_16_64 0
		.amdhsa_float_denorm_mode_32 3
		.amdhsa_float_denorm_mode_16_64 3
		.amdhsa_fp16_overflow 0
		.amdhsa_workgroup_processor_mode 1
		.amdhsa_memory_ordered 1
		.amdhsa_forward_progress 1
		.amdhsa_inst_pref_size 8
		.amdhsa_round_robin_scheduling 0
		.amdhsa_exception_fp_ieee_invalid_op 0
		.amdhsa_exception_fp_denorm_src 0
		.amdhsa_exception_fp_ieee_div_zero 0
		.amdhsa_exception_fp_ieee_overflow 0
		.amdhsa_exception_fp_ieee_underflow 0
		.amdhsa_exception_fp_ieee_inexact 0
		.amdhsa_exception_int_div_zero 0
	.end_amdhsa_kernel
	.section	.text._Z30fast_hadamard_transform_kernelI37fast_hadamard_transform_kernel_traitsILi2ELi4E14__hip_bfloat16EEv18HadamardParamsBase,"axG",@progbits,_Z30fast_hadamard_transform_kernelI37fast_hadamard_transform_kernel_traitsILi2ELi4E14__hip_bfloat16EEv18HadamardParamsBase,comdat
.Lfunc_end27:
	.size	_Z30fast_hadamard_transform_kernelI37fast_hadamard_transform_kernel_traitsILi2ELi4E14__hip_bfloat16EEv18HadamardParamsBase, .Lfunc_end27-_Z30fast_hadamard_transform_kernelI37fast_hadamard_transform_kernel_traitsILi2ELi4E14__hip_bfloat16EEv18HadamardParamsBase
                                        ; -- End function
	.set _Z30fast_hadamard_transform_kernelI37fast_hadamard_transform_kernel_traitsILi2ELi4E14__hip_bfloat16EEv18HadamardParamsBase.num_vgpr, 18
	.set _Z30fast_hadamard_transform_kernelI37fast_hadamard_transform_kernel_traitsILi2ELi4E14__hip_bfloat16EEv18HadamardParamsBase.num_agpr, 0
	.set _Z30fast_hadamard_transform_kernelI37fast_hadamard_transform_kernel_traitsILi2ELi4E14__hip_bfloat16EEv18HadamardParamsBase.numbered_sgpr, 10
	.set _Z30fast_hadamard_transform_kernelI37fast_hadamard_transform_kernel_traitsILi2ELi4E14__hip_bfloat16EEv18HadamardParamsBase.num_named_barrier, 0
	.set _Z30fast_hadamard_transform_kernelI37fast_hadamard_transform_kernel_traitsILi2ELi4E14__hip_bfloat16EEv18HadamardParamsBase.private_seg_size, 0
	.set _Z30fast_hadamard_transform_kernelI37fast_hadamard_transform_kernel_traitsILi2ELi4E14__hip_bfloat16EEv18HadamardParamsBase.uses_vcc, 1
	.set _Z30fast_hadamard_transform_kernelI37fast_hadamard_transform_kernel_traitsILi2ELi4E14__hip_bfloat16EEv18HadamardParamsBase.uses_flat_scratch, 0
	.set _Z30fast_hadamard_transform_kernelI37fast_hadamard_transform_kernel_traitsILi2ELi4E14__hip_bfloat16EEv18HadamardParamsBase.has_dyn_sized_stack, 0
	.set _Z30fast_hadamard_transform_kernelI37fast_hadamard_transform_kernel_traitsILi2ELi4E14__hip_bfloat16EEv18HadamardParamsBase.has_recursion, 0
	.set _Z30fast_hadamard_transform_kernelI37fast_hadamard_transform_kernel_traitsILi2ELi4E14__hip_bfloat16EEv18HadamardParamsBase.has_indirect_call, 0
	.section	.AMDGPU.csdata,"",@progbits
; Kernel info:
; codeLenInByte = 996
; TotalNumSgprs: 12
; NumVgprs: 18
; ScratchSize: 0
; MemoryBound: 0
; FloatMode: 240
; IeeeMode: 1
; LDSByteSize: 0 bytes/workgroup (compile time only)
; SGPRBlocks: 0
; VGPRBlocks: 2
; NumSGPRsForWavesPerEU: 12
; NumVGPRsForWavesPerEU: 18
; Occupancy: 16
; WaveLimiterHint : 0
; COMPUTE_PGM_RSRC2:SCRATCH_EN: 0
; COMPUTE_PGM_RSRC2:USER_SGPR: 2
; COMPUTE_PGM_RSRC2:TRAP_HANDLER: 0
; COMPUTE_PGM_RSRC2:TGID_X_EN: 1
; COMPUTE_PGM_RSRC2:TGID_Y_EN: 0
; COMPUTE_PGM_RSRC2:TGID_Z_EN: 0
; COMPUTE_PGM_RSRC2:TIDIG_COMP_CNT: 0
	.section	.text._Z30fast_hadamard_transform_kernelI37fast_hadamard_transform_kernel_traitsILi4ELi5E14__hip_bfloat16EEv18HadamardParamsBase,"axG",@progbits,_Z30fast_hadamard_transform_kernelI37fast_hadamard_transform_kernel_traitsILi4ELi5E14__hip_bfloat16EEv18HadamardParamsBase,comdat
	.protected	_Z30fast_hadamard_transform_kernelI37fast_hadamard_transform_kernel_traitsILi4ELi5E14__hip_bfloat16EEv18HadamardParamsBase ; -- Begin function _Z30fast_hadamard_transform_kernelI37fast_hadamard_transform_kernel_traitsILi4ELi5E14__hip_bfloat16EEv18HadamardParamsBase
	.globl	_Z30fast_hadamard_transform_kernelI37fast_hadamard_transform_kernel_traitsILi4ELi5E14__hip_bfloat16EEv18HadamardParamsBase
	.p2align	8
	.type	_Z30fast_hadamard_transform_kernelI37fast_hadamard_transform_kernel_traitsILi4ELi5E14__hip_bfloat16EEv18HadamardParamsBase,@function
_Z30fast_hadamard_transform_kernelI37fast_hadamard_transform_kernel_traitsILi4ELi5E14__hip_bfloat16EEv18HadamardParamsBase: ; @_Z30fast_hadamard_transform_kernelI37fast_hadamard_transform_kernel_traitsILi4ELi5E14__hip_bfloat16EEv18HadamardParamsBase
; %bb.0:
	s_load_b32 s2, s[0:1], 0x4
	v_dual_mov_b32 v6, 0 :: v_dual_lshlrev_b32 v9, 3, v0
	v_dual_mov_b32 v2, 0 :: v_dual_mov_b32 v3, 0
	v_dual_mov_b32 v4, 0 :: v_dual_mov_b32 v5, 0
	;; [unrolled: 1-line block ×3, first 2 shown]
	v_lshlrev_b32_e32 v1, 4, v0
	s_mov_b32 s8, ttmp9
	s_ashr_i32 s9, ttmp9, 31
	s_wait_kmcnt 0x0
	v_cmp_gt_u32_e32 vcc_lo, s2, v9
	v_mov_b32_e32 v9, 0
	s_and_saveexec_b32 s2, vcc_lo
	s_cbranch_execz .LBB28_2
; %bb.1:
	s_clause 0x1
	s_load_b64 s[4:5], s[0:1], 0x10
	s_load_b64 s[6:7], s[0:1], 0x28
	s_wait_kmcnt 0x0
	s_mul_u64 s[4:5], s[4:5], s[8:9]
	s_delay_alu instid0(SALU_CYCLE_1) | instskip(NEXT) | instid1(SALU_CYCLE_1)
	s_lshl_b64 s[4:5], s[4:5], 1
	s_add_nc_u64 s[4:5], s[6:7], s[4:5]
	global_load_b128 v[10:13], v1, s[4:5]
	s_wait_loadcnt 0x0
	v_lshlrev_b32_e32 v9, 16, v10
	v_and_b32_e32 v8, 0xffff0000, v10
	v_lshlrev_b32_e32 v7, 16, v11
	v_and_b32_e32 v6, 0xffff0000, v11
	;; [unrolled: 2-line block ×4, first 2 shown]
.LBB28_2:
	s_wait_alu 0xfffe
	s_or_b32 exec_lo, exec_lo, s2
	v_mbcnt_lo_u32_b32 v11, -1, 0
	v_add_f32_e32 v10, v8, v9
	v_dual_sub_f32 v8, v9, v8 :: v_dual_add_f32 v9, v6, v7
	v_sub_f32_e32 v6, v7, v6
	s_delay_alu instid0(VALU_DEP_4) | instskip(SKIP_2) | instid1(VALU_DEP_3)
	v_xor_b32_e32 v12, 1, v11
	v_dual_add_f32 v7, v4, v5 :: v_dual_sub_f32 v4, v5, v4
	v_add_f32_e32 v5, v2, v3
	v_cmp_gt_i32_e64 s2, 32, v12
	s_wait_alu 0xf1ff
	s_delay_alu instid0(VALU_DEP_1)
	v_cndmask_b32_e64 v12, v11, v12, s2
	v_sub_f32_e32 v2, v3, v2
	v_add_f32_e32 v3, v9, v10
	v_sub_f32_e32 v9, v10, v9
	v_add_f32_e32 v10, v6, v8
	v_sub_f32_e32 v6, v8, v6
	v_dual_add_f32 v8, v5, v7 :: v_dual_sub_f32 v5, v7, v5
	v_lshlrev_b32_e32 v7, 2, v12
	v_dual_add_f32 v13, v2, v4 :: v_dual_sub_f32 v2, v4, v2
	s_delay_alu instid0(VALU_DEP_3) | instskip(SKIP_1) | instid1(VALU_DEP_3)
	v_dual_add_f32 v4, v8, v3 :: v_dual_sub_f32 v3, v3, v8
	v_and_b32_e32 v20, 1, v0
	v_dual_add_f32 v14, v5, v9 :: v_dual_add_f32 v15, v2, v6
	v_sub_f32_e32 v9, v9, v5
	ds_bpermute_b32 v16, v7, v4
	v_cmp_eq_u32_e64 s2, 0, v20
	ds_bpermute_b32 v18, v7, v14
	ds_bpermute_b32 v19, v7, v15
	v_add_f32_e32 v12, v13, v10
	v_sub_f32_e32 v8, v10, v13
	ds_bpermute_b32 v20, v7, v9
	s_wait_alu 0xf1ff
	v_cndmask_b32_e64 v9, -v9, v9, s2
	v_sub_f32_e32 v6, v6, v2
	ds_bpermute_b32 v17, v7, v12
	ds_bpermute_b32 v10, v7, v3
	;; [unrolled: 1-line block ×3, first 2 shown]
	v_cndmask_b32_e64 v2, -v4, v4, s2
	ds_bpermute_b32 v21, v7, v6
	v_cndmask_b32_e64 v7, -v15, v15, s2
	v_cndmask_b32_e64 v3, -v3, v3, s2
	s_wait_dscnt 0x5
	s_delay_alu instid0(VALU_DEP_2)
	v_dual_add_f32 v2, v2, v16 :: v_dual_add_f32 v7, v7, v19
	v_cndmask_b32_e64 v4, -v12, v12, s2
	v_xor_b32_e32 v12, 2, v11
	s_wait_dscnt 0x4
	v_add_f32_e32 v15, v9, v20
	v_cndmask_b32_e64 v6, -v6, v6, s2
	s_wait_dscnt 0x3
	v_add_f32_e32 v4, v4, v17
	v_cmp_gt_i32_e64 s3, 32, v12
	s_wait_dscnt 0x0
	v_add_f32_e32 v16, v6, v21
	s_wait_alu 0xf1ff
	s_delay_alu instid0(VALU_DEP_2) | instskip(NEXT) | instid1(VALU_DEP_1)
	v_cndmask_b32_e64 v11, v11, v12, s3
	v_dual_add_f32 v12, v3, v10 :: v_dual_lshlrev_b32 v17, 2, v11
	v_cndmask_b32_e64 v5, -v14, v14, s2
	ds_bpermute_b32 v3, v17, v2
	v_add_f32_e32 v5, v5, v18
	v_cndmask_b32_e64 v8, -v8, v8, s2
	ds_bpermute_b32 v6, v17, v4
	ds_bpermute_b32 v9, v17, v7
	ds_bpermute_b32 v10, v17, v12
	v_add_f32_e32 v14, v8, v13
	ds_bpermute_b32 v8, v17, v5
	ds_bpermute_b32 v13, v17, v15
	;; [unrolled: 1-line block ×4, first 2 shown]
	s_and_saveexec_b32 s2, vcc_lo
	s_cbranch_execz .LBB28_4
; %bb.3:
	v_and_b32_e32 v0, 2, v0
	s_clause 0x1
	s_load_b96 s[4:6], s[0:1], 0x18
	s_load_b64 s[0:1], s[0:1], 0x30
	s_delay_alu instid0(VALU_DEP_1)
	v_cmp_eq_u32_e32 vcc_lo, 0, v0
	v_cndmask_b32_e64 v0, -v16, v16, vcc_lo
	v_cndmask_b32_e64 v15, -v15, v15, vcc_lo
	;; [unrolled: 1-line block ×5, first 2 shown]
	s_wait_dscnt 0x0
	v_add_f32_e32 v0, v0, v17
	v_cndmask_b32_e64 v4, -v4, v4, vcc_lo
	v_cndmask_b32_e64 v2, -v2, v2, vcc_lo
	v_add_f32_e32 v13, v15, v13
	v_add_f32_e32 v11, v14, v11
	v_cndmask_b32_e64 v7, -v7, v7, vcc_lo
	s_wait_kmcnt 0x0
	v_mul_f32_e32 v0, s6, v0
	v_dual_add_f32 v10, v12, v10 :: v_dual_add_f32 v5, v5, v8
	v_add_f32_e32 v4, v4, v6
	v_mul_f32_e32 v6, s6, v13
	v_add_f32_e32 v2, v2, v3
	v_mul_f32_e32 v3, s6, v11
	v_bfe_u32 v8, v0, 16, 1
	v_add_f32_e32 v7, v7, v9
	v_mul_f32_e32 v9, s6, v10
	v_bfe_u32 v10, v6, 16, 1
	v_or_b32_e32 v11, 0x400000, v0
	v_add3_u32 v8, v8, v0, 0x7fff
	v_cmp_u_f32_e32 vcc_lo, v0, v0
	v_or_b32_e32 v12, 0x400000, v6
	v_bfe_u32 v13, v3, 16, 1
	v_add3_u32 v10, v10, v6, 0x7fff
	v_bfe_u32 v14, v9, 16, 1
	s_wait_alu 0xfffd
	v_cndmask_b32_e32 v0, v8, v11, vcc_lo
	v_cmp_u_f32_e32 vcc_lo, v6, v6
	v_add3_u32 v8, v13, v3, 0x7fff
	v_mul_f32_e32 v7, s6, v7
	v_add3_u32 v11, v14, v9, 0x7fff
	v_dual_mul_f32 v5, s6, v5 :: v_dual_mul_f32 v4, s6, v4
	s_wait_alu 0xfffd
	v_cndmask_b32_e32 v6, v10, v12, vcc_lo
	v_or_b32_e32 v10, 0x400000, v3
	v_cmp_u_f32_e32 vcc_lo, v3, v3
	v_or_b32_e32 v12, 0x400000, v9
	v_or_b32_e32 v13, 0x400000, v4
	s_mul_u64 s[2:3], s[4:5], s[8:9]
	s_wait_alu 0xfffd
	v_cndmask_b32_e32 v3, v8, v10, vcc_lo
	v_bfe_u32 v8, v7, 16, 1
	v_cmp_u_f32_e32 vcc_lo, v9, v9
	v_or_b32_e32 v10, 0x400000, v7
	s_wait_alu 0xfffe
	s_lshl_b64 s[2:3], s[2:3], 1
	v_add3_u32 v8, v8, v7, 0x7fff
	s_wait_alu 0xfffd
	v_cndmask_b32_e32 v9, v11, v12, vcc_lo
	v_bfe_u32 v11, v5, 16, 1
	v_cmp_u_f32_e32 vcc_lo, v7, v7
	v_bfe_u32 v12, v4, 16, 1
	s_wait_alu 0xfffe
	s_add_nc_u64 s[0:1], s[0:1], s[2:3]
	s_wait_alu 0xfffd
	v_cndmask_b32_e32 v7, v8, v10, vcc_lo
	v_add3_u32 v10, v11, v5, 0x7fff
	v_or_b32_e32 v11, 0x400000, v5
	v_cmp_u_f32_e32 vcc_lo, v5, v5
	v_add3_u32 v12, v12, v4, 0x7fff
	v_perm_b32 v5, v0, v6, 0x7060302
	s_wait_alu 0xfffd
	v_cndmask_b32_e32 v10, v10, v11, vcc_lo
	v_cmp_u_f32_e32 vcc_lo, v4, v4
	v_mul_f32_e32 v2, s6, v2
	v_perm_b32 v4, v3, v9, 0x7060302
	s_delay_alu instid0(VALU_DEP_4)
	v_perm_b32 v3, v7, v10, 0x7060302
	s_wait_alu 0xfffd
	v_cndmask_b32_e32 v11, v12, v13, vcc_lo
	v_bfe_u32 v8, v2, 16, 1
	v_or_b32_e32 v14, 0x400000, v2
	v_cmp_u_f32_e32 vcc_lo, v2, v2
	s_delay_alu instid0(VALU_DEP_3) | instskip(SKIP_1) | instid1(VALU_DEP_1)
	v_add3_u32 v8, v8, v2, 0x7fff
	s_wait_alu 0xfffd
	v_cndmask_b32_e32 v2, v8, v14, vcc_lo
	s_delay_alu instid0(VALU_DEP_1)
	v_perm_b32 v2, v11, v2, 0x7060302
	global_store_b128 v1, v[2:5], s[0:1]
.LBB28_4:
	s_endpgm
	.section	.rodata,"a",@progbits
	.p2align	6, 0x0
	.amdhsa_kernel _Z30fast_hadamard_transform_kernelI37fast_hadamard_transform_kernel_traitsILi4ELi5E14__hip_bfloat16EEv18HadamardParamsBase
		.amdhsa_group_segment_fixed_size 0
		.amdhsa_private_segment_fixed_size 0
		.amdhsa_kernarg_size 56
		.amdhsa_user_sgpr_count 2
		.amdhsa_user_sgpr_dispatch_ptr 0
		.amdhsa_user_sgpr_queue_ptr 0
		.amdhsa_user_sgpr_kernarg_segment_ptr 1
		.amdhsa_user_sgpr_dispatch_id 0
		.amdhsa_user_sgpr_private_segment_size 0
		.amdhsa_wavefront_size32 1
		.amdhsa_uses_dynamic_stack 0
		.amdhsa_enable_private_segment 0
		.amdhsa_system_sgpr_workgroup_id_x 1
		.amdhsa_system_sgpr_workgroup_id_y 0
		.amdhsa_system_sgpr_workgroup_id_z 0
		.amdhsa_system_sgpr_workgroup_info 0
		.amdhsa_system_vgpr_workitem_id 0
		.amdhsa_next_free_vgpr 22
		.amdhsa_next_free_sgpr 10
		.amdhsa_reserve_vcc 1
		.amdhsa_float_round_mode_32 0
		.amdhsa_float_round_mode_16_64 0
		.amdhsa_float_denorm_mode_32 3
		.amdhsa_float_denorm_mode_16_64 3
		.amdhsa_fp16_overflow 0
		.amdhsa_workgroup_processor_mode 1
		.amdhsa_memory_ordered 1
		.amdhsa_forward_progress 1
		.amdhsa_inst_pref_size 10
		.amdhsa_round_robin_scheduling 0
		.amdhsa_exception_fp_ieee_invalid_op 0
		.amdhsa_exception_fp_denorm_src 0
		.amdhsa_exception_fp_ieee_div_zero 0
		.amdhsa_exception_fp_ieee_overflow 0
		.amdhsa_exception_fp_ieee_underflow 0
		.amdhsa_exception_fp_ieee_inexact 0
		.amdhsa_exception_int_div_zero 0
	.end_amdhsa_kernel
	.section	.text._Z30fast_hadamard_transform_kernelI37fast_hadamard_transform_kernel_traitsILi4ELi5E14__hip_bfloat16EEv18HadamardParamsBase,"axG",@progbits,_Z30fast_hadamard_transform_kernelI37fast_hadamard_transform_kernel_traitsILi4ELi5E14__hip_bfloat16EEv18HadamardParamsBase,comdat
.Lfunc_end28:
	.size	_Z30fast_hadamard_transform_kernelI37fast_hadamard_transform_kernel_traitsILi4ELi5E14__hip_bfloat16EEv18HadamardParamsBase, .Lfunc_end28-_Z30fast_hadamard_transform_kernelI37fast_hadamard_transform_kernel_traitsILi4ELi5E14__hip_bfloat16EEv18HadamardParamsBase
                                        ; -- End function
	.set _Z30fast_hadamard_transform_kernelI37fast_hadamard_transform_kernel_traitsILi4ELi5E14__hip_bfloat16EEv18HadamardParamsBase.num_vgpr, 22
	.set _Z30fast_hadamard_transform_kernelI37fast_hadamard_transform_kernel_traitsILi4ELi5E14__hip_bfloat16EEv18HadamardParamsBase.num_agpr, 0
	.set _Z30fast_hadamard_transform_kernelI37fast_hadamard_transform_kernel_traitsILi4ELi5E14__hip_bfloat16EEv18HadamardParamsBase.numbered_sgpr, 10
	.set _Z30fast_hadamard_transform_kernelI37fast_hadamard_transform_kernel_traitsILi4ELi5E14__hip_bfloat16EEv18HadamardParamsBase.num_named_barrier, 0
	.set _Z30fast_hadamard_transform_kernelI37fast_hadamard_transform_kernel_traitsILi4ELi5E14__hip_bfloat16EEv18HadamardParamsBase.private_seg_size, 0
	.set _Z30fast_hadamard_transform_kernelI37fast_hadamard_transform_kernel_traitsILi4ELi5E14__hip_bfloat16EEv18HadamardParamsBase.uses_vcc, 1
	.set _Z30fast_hadamard_transform_kernelI37fast_hadamard_transform_kernel_traitsILi4ELi5E14__hip_bfloat16EEv18HadamardParamsBase.uses_flat_scratch, 0
	.set _Z30fast_hadamard_transform_kernelI37fast_hadamard_transform_kernel_traitsILi4ELi5E14__hip_bfloat16EEv18HadamardParamsBase.has_dyn_sized_stack, 0
	.set _Z30fast_hadamard_transform_kernelI37fast_hadamard_transform_kernel_traitsILi4ELi5E14__hip_bfloat16EEv18HadamardParamsBase.has_recursion, 0
	.set _Z30fast_hadamard_transform_kernelI37fast_hadamard_transform_kernel_traitsILi4ELi5E14__hip_bfloat16EEv18HadamardParamsBase.has_indirect_call, 0
	.section	.AMDGPU.csdata,"",@progbits
; Kernel info:
; codeLenInByte = 1212
; TotalNumSgprs: 12
; NumVgprs: 22
; ScratchSize: 0
; MemoryBound: 0
; FloatMode: 240
; IeeeMode: 1
; LDSByteSize: 0 bytes/workgroup (compile time only)
; SGPRBlocks: 0
; VGPRBlocks: 2
; NumSGPRsForWavesPerEU: 12
; NumVGPRsForWavesPerEU: 22
; Occupancy: 16
; WaveLimiterHint : 0
; COMPUTE_PGM_RSRC2:SCRATCH_EN: 0
; COMPUTE_PGM_RSRC2:USER_SGPR: 2
; COMPUTE_PGM_RSRC2:TRAP_HANDLER: 0
; COMPUTE_PGM_RSRC2:TGID_X_EN: 1
; COMPUTE_PGM_RSRC2:TGID_Y_EN: 0
; COMPUTE_PGM_RSRC2:TGID_Z_EN: 0
; COMPUTE_PGM_RSRC2:TIDIG_COMP_CNT: 0
	.section	.text._Z30fast_hadamard_transform_kernelI37fast_hadamard_transform_kernel_traitsILi8ELi6E14__hip_bfloat16EEv18HadamardParamsBase,"axG",@progbits,_Z30fast_hadamard_transform_kernelI37fast_hadamard_transform_kernel_traitsILi8ELi6E14__hip_bfloat16EEv18HadamardParamsBase,comdat
	.protected	_Z30fast_hadamard_transform_kernelI37fast_hadamard_transform_kernel_traitsILi8ELi6E14__hip_bfloat16EEv18HadamardParamsBase ; -- Begin function _Z30fast_hadamard_transform_kernelI37fast_hadamard_transform_kernel_traitsILi8ELi6E14__hip_bfloat16EEv18HadamardParamsBase
	.globl	_Z30fast_hadamard_transform_kernelI37fast_hadamard_transform_kernel_traitsILi8ELi6E14__hip_bfloat16EEv18HadamardParamsBase
	.p2align	8
	.type	_Z30fast_hadamard_transform_kernelI37fast_hadamard_transform_kernel_traitsILi8ELi6E14__hip_bfloat16EEv18HadamardParamsBase,@function
_Z30fast_hadamard_transform_kernelI37fast_hadamard_transform_kernel_traitsILi8ELi6E14__hip_bfloat16EEv18HadamardParamsBase: ; @_Z30fast_hadamard_transform_kernelI37fast_hadamard_transform_kernel_traitsILi8ELi6E14__hip_bfloat16EEv18HadamardParamsBase
; %bb.0:
	s_load_b32 s2, s[0:1], 0x4
	v_dual_mov_b32 v6, 0 :: v_dual_lshlrev_b32 v9, 3, v0
	v_dual_mov_b32 v2, 0 :: v_dual_mov_b32 v3, 0
	v_dual_mov_b32 v4, 0 :: v_dual_mov_b32 v5, 0
	;; [unrolled: 1-line block ×3, first 2 shown]
	v_lshlrev_b32_e32 v1, 4, v0
	s_mov_b32 s8, ttmp9
	s_ashr_i32 s9, ttmp9, 31
	s_wait_kmcnt 0x0
	v_cmp_gt_u32_e32 vcc_lo, s2, v9
	v_mov_b32_e32 v9, 0
	s_and_saveexec_b32 s2, vcc_lo
	s_cbranch_execz .LBB29_2
; %bb.1:
	s_clause 0x1
	s_load_b64 s[4:5], s[0:1], 0x10
	s_load_b64 s[6:7], s[0:1], 0x28
	s_wait_kmcnt 0x0
	s_mul_u64 s[4:5], s[4:5], s[8:9]
	s_delay_alu instid0(SALU_CYCLE_1) | instskip(NEXT) | instid1(SALU_CYCLE_1)
	s_lshl_b64 s[4:5], s[4:5], 1
	s_add_nc_u64 s[4:5], s[6:7], s[4:5]
	global_load_b128 v[10:13], v1, s[4:5]
	s_wait_loadcnt 0x0
	v_lshlrev_b32_e32 v9, 16, v10
	v_and_b32_e32 v8, 0xffff0000, v10
	v_lshlrev_b32_e32 v7, 16, v11
	v_and_b32_e32 v6, 0xffff0000, v11
	;; [unrolled: 2-line block ×4, first 2 shown]
.LBB29_2:
	s_wait_alu 0xfffe
	s_or_b32 exec_lo, exec_lo, s2
	v_mbcnt_lo_u32_b32 v11, -1, 0
	v_add_f32_e32 v10, v8, v9
	v_dual_sub_f32 v8, v9, v8 :: v_dual_add_f32 v9, v6, v7
	v_sub_f32_e32 v6, v7, v6
	s_delay_alu instid0(VALU_DEP_4) | instskip(SKIP_2) | instid1(VALU_DEP_3)
	v_xor_b32_e32 v12, 1, v11
	v_dual_add_f32 v7, v4, v5 :: v_dual_sub_f32 v4, v5, v4
	v_dual_add_f32 v5, v2, v3 :: v_dual_and_b32 v20, 2, v0
	v_cmp_gt_i32_e64 s2, 32, v12
	s_wait_alu 0xf1ff
	s_delay_alu instid0(VALU_DEP_1)
	v_cndmask_b32_e64 v12, v11, v12, s2
	v_sub_f32_e32 v2, v3, v2
	v_add_f32_e32 v3, v9, v10
	v_sub_f32_e32 v9, v10, v9
	v_add_f32_e32 v10, v6, v8
	v_sub_f32_e32 v6, v8, v6
	v_dual_add_f32 v8, v5, v7 :: v_dual_sub_f32 v5, v7, v5
	v_and_b32_e32 v16, 1, v0
	v_lshlrev_b32_e32 v7, 2, v12
	v_dual_add_f32 v13, v2, v4 :: v_dual_sub_f32 v2, v4, v2
	s_delay_alu instid0(VALU_DEP_4)
	v_add_f32_e32 v4, v8, v3
	v_dual_add_f32 v14, v5, v9 :: v_dual_sub_f32 v3, v3, v8
	v_sub_f32_e32 v5, v9, v5
	v_cmp_eq_u32_e64 s2, 0, v16
	v_add_f32_e32 v12, v13, v10
	ds_bpermute_b32 v19, v7, v14
	v_add_f32_e32 v15, v2, v6
	ds_bpermute_b32 v16, v7, v5
	s_wait_alu 0xf1ff
	v_cndmask_b32_e64 v9, -v14, v14, s2
	v_sub_f32_e32 v10, v10, v13
	ds_bpermute_b32 v13, v7, v3
	v_cndmask_b32_e64 v3, -v3, v3, s2
	v_cndmask_b32_e64 v5, -v5, v5, s2
	v_sub_f32_e32 v2, v6, v2
	ds_bpermute_b32 v17, v7, v4
	ds_bpermute_b32 v8, v7, v15
	v_cndmask_b32_e64 v4, -v4, v4, s2
	v_cndmask_b32_e64 v15, -v15, v15, s2
	s_wait_dscnt 0x4
	v_add_f32_e32 v9, v9, v19
	ds_bpermute_b32 v14, v7, v10
	v_cndmask_b32_e64 v10, -v10, v10, s2
	s_wait_dscnt 0x3
	v_add_f32_e32 v3, v3, v13
	ds_bpermute_b32 v18, v7, v12
	v_cndmask_b32_e64 v6, -v12, v12, s2
	v_xor_b32_e32 v12, 2, v11
	v_add_f32_e32 v13, v5, v16
	ds_bpermute_b32 v7, v7, v2
	v_cndmask_b32_e64 v2, -v2, v2, s2
	v_cmp_eq_u32_e64 s2, 0, v20
	v_cmp_gt_i32_e64 s3, 32, v12
	s_wait_dscnt 0x3
	v_add_f32_e32 v8, v15, v8
	s_wait_alu 0xf1ff
	v_cndmask_b32_e64 v5, -v9, v9, s2
	v_cndmask_b32_e64 v12, v11, v12, s3
	s_wait_dscnt 0x2
	v_add_f32_e32 v10, v10, v14
	s_delay_alu instid0(VALU_DEP_2)
	v_lshlrev_b32_e32 v12, 2, v12
	ds_bpermute_b32 v21, v12, v13
	s_wait_dscnt 0x2
	v_add_f32_e32 v6, v6, v18
	ds_bpermute_b32 v18, v12, v9
	v_add_f32_e32 v4, v4, v17
	ds_bpermute_b32 v19, v12, v8
	s_wait_dscnt 0x3
	v_add_f32_e32 v14, v2, v7
	v_cndmask_b32_e64 v9, -v13, v13, s2
	ds_bpermute_b32 v16, v12, v3
	ds_bpermute_b32 v20, v12, v10
	v_cndmask_b32_e64 v3, -v3, v3, s2
	ds_bpermute_b32 v22, v12, v14
	s_wait_dscnt 0x4
	v_add_f32_e32 v5, v5, v18
	ds_bpermute_b32 v15, v12, v4
	v_cndmask_b32_e64 v2, -v4, v4, s2
	s_wait_dscnt 0x0
	s_delay_alu instid0(VALU_DEP_1) | instskip(SKIP_4) | instid1(VALU_DEP_2)
	v_dual_add_f32 v2, v2, v15 :: v_dual_add_f32 v15, v9, v21
	ds_bpermute_b32 v17, v12, v6
	v_cndmask_b32_e64 v4, -v6, v6, s2
	v_cndmask_b32_e64 v6, -v8, v8, s2
	v_xor_b32_e32 v8, 4, v11
	v_dual_add_f32 v12, v3, v16 :: v_dual_add_f32 v7, v6, v19
	s_delay_alu instid0(VALU_DEP_2) | instskip(SKIP_1) | instid1(VALU_DEP_1)
	v_cmp_gt_i32_e64 s3, 32, v8
	s_wait_alu 0xf1ff
	v_cndmask_b32_e64 v6, v11, v8, s3
	v_cndmask_b32_e64 v8, -v10, v10, s2
	v_cndmask_b32_e64 v10, -v14, v14, s2
	s_delay_alu instid0(VALU_DEP_2) | instskip(SKIP_2) | instid1(VALU_DEP_3)
	v_add_f32_e32 v14, v8, v20
	s_wait_dscnt 0x0
	v_dual_add_f32 v4, v4, v17 :: v_dual_lshlrev_b32 v17, 2, v6
	v_add_f32_e32 v16, v10, v22
	ds_bpermute_b32 v3, v17, v2
	ds_bpermute_b32 v6, v17, v4
	;; [unrolled: 1-line block ×8, first 2 shown]
	s_and_saveexec_b32 s2, vcc_lo
	s_cbranch_execz .LBB29_4
; %bb.3:
	v_and_b32_e32 v0, 4, v0
	s_clause 0x1
	s_load_b96 s[4:6], s[0:1], 0x18
	s_load_b64 s[0:1], s[0:1], 0x30
	s_delay_alu instid0(VALU_DEP_1)
	v_cmp_eq_u32_e32 vcc_lo, 0, v0
	v_cndmask_b32_e64 v0, -v16, v16, vcc_lo
	v_cndmask_b32_e64 v15, -v15, v15, vcc_lo
	;; [unrolled: 1-line block ×5, first 2 shown]
	s_wait_dscnt 0x0
	v_add_f32_e32 v0, v0, v17
	v_cndmask_b32_e64 v4, -v4, v4, vcc_lo
	v_cndmask_b32_e64 v2, -v2, v2, vcc_lo
	v_add_f32_e32 v13, v15, v13
	v_add_f32_e32 v11, v14, v11
	v_cndmask_b32_e64 v7, -v7, v7, vcc_lo
	s_wait_kmcnt 0x0
	v_mul_f32_e32 v0, s6, v0
	v_dual_add_f32 v10, v12, v10 :: v_dual_add_f32 v5, v5, v8
	v_add_f32_e32 v4, v4, v6
	v_mul_f32_e32 v6, s6, v13
	v_add_f32_e32 v2, v2, v3
	v_mul_f32_e32 v3, s6, v11
	v_bfe_u32 v8, v0, 16, 1
	v_add_f32_e32 v7, v7, v9
	v_mul_f32_e32 v9, s6, v10
	v_bfe_u32 v10, v6, 16, 1
	v_or_b32_e32 v11, 0x400000, v0
	v_add3_u32 v8, v8, v0, 0x7fff
	v_cmp_u_f32_e32 vcc_lo, v0, v0
	v_or_b32_e32 v12, 0x400000, v6
	v_bfe_u32 v13, v3, 16, 1
	v_add3_u32 v10, v10, v6, 0x7fff
	v_bfe_u32 v14, v9, 16, 1
	s_wait_alu 0xfffd
	v_cndmask_b32_e32 v0, v8, v11, vcc_lo
	v_cmp_u_f32_e32 vcc_lo, v6, v6
	v_add3_u32 v8, v13, v3, 0x7fff
	v_mul_f32_e32 v7, s6, v7
	v_add3_u32 v11, v14, v9, 0x7fff
	v_dual_mul_f32 v5, s6, v5 :: v_dual_mul_f32 v4, s6, v4
	s_wait_alu 0xfffd
	v_cndmask_b32_e32 v6, v10, v12, vcc_lo
	v_or_b32_e32 v10, 0x400000, v3
	v_cmp_u_f32_e32 vcc_lo, v3, v3
	v_or_b32_e32 v12, 0x400000, v9
	v_or_b32_e32 v13, 0x400000, v4
	s_mul_u64 s[2:3], s[4:5], s[8:9]
	s_wait_alu 0xfffd
	v_cndmask_b32_e32 v3, v8, v10, vcc_lo
	v_bfe_u32 v8, v7, 16, 1
	v_cmp_u_f32_e32 vcc_lo, v9, v9
	v_or_b32_e32 v10, 0x400000, v7
	s_wait_alu 0xfffe
	s_lshl_b64 s[2:3], s[2:3], 1
	v_add3_u32 v8, v8, v7, 0x7fff
	s_wait_alu 0xfffd
	v_cndmask_b32_e32 v9, v11, v12, vcc_lo
	v_bfe_u32 v11, v5, 16, 1
	v_cmp_u_f32_e32 vcc_lo, v7, v7
	v_bfe_u32 v12, v4, 16, 1
	s_wait_alu 0xfffe
	s_add_nc_u64 s[0:1], s[0:1], s[2:3]
	s_wait_alu 0xfffd
	v_cndmask_b32_e32 v7, v8, v10, vcc_lo
	v_add3_u32 v10, v11, v5, 0x7fff
	v_or_b32_e32 v11, 0x400000, v5
	v_cmp_u_f32_e32 vcc_lo, v5, v5
	v_add3_u32 v12, v12, v4, 0x7fff
	v_perm_b32 v5, v0, v6, 0x7060302
	s_wait_alu 0xfffd
	v_cndmask_b32_e32 v10, v10, v11, vcc_lo
	v_cmp_u_f32_e32 vcc_lo, v4, v4
	v_mul_f32_e32 v2, s6, v2
	v_perm_b32 v4, v3, v9, 0x7060302
	s_delay_alu instid0(VALU_DEP_4)
	v_perm_b32 v3, v7, v10, 0x7060302
	s_wait_alu 0xfffd
	v_cndmask_b32_e32 v11, v12, v13, vcc_lo
	v_bfe_u32 v8, v2, 16, 1
	v_or_b32_e32 v14, 0x400000, v2
	v_cmp_u_f32_e32 vcc_lo, v2, v2
	s_delay_alu instid0(VALU_DEP_3) | instskip(SKIP_1) | instid1(VALU_DEP_1)
	v_add3_u32 v8, v8, v2, 0x7fff
	s_wait_alu 0xfffd
	v_cndmask_b32_e32 v2, v8, v14, vcc_lo
	s_delay_alu instid0(VALU_DEP_1)
	v_perm_b32 v2, v11, v2, 0x7060302
	global_store_b128 v1, v[2:5], s[0:1]
.LBB29_4:
	s_endpgm
	.section	.rodata,"a",@progbits
	.p2align	6, 0x0
	.amdhsa_kernel _Z30fast_hadamard_transform_kernelI37fast_hadamard_transform_kernel_traitsILi8ELi6E14__hip_bfloat16EEv18HadamardParamsBase
		.amdhsa_group_segment_fixed_size 0
		.amdhsa_private_segment_fixed_size 0
		.amdhsa_kernarg_size 56
		.amdhsa_user_sgpr_count 2
		.amdhsa_user_sgpr_dispatch_ptr 0
		.amdhsa_user_sgpr_queue_ptr 0
		.amdhsa_user_sgpr_kernarg_segment_ptr 1
		.amdhsa_user_sgpr_dispatch_id 0
		.amdhsa_user_sgpr_private_segment_size 0
		.amdhsa_wavefront_size32 1
		.amdhsa_uses_dynamic_stack 0
		.amdhsa_enable_private_segment 0
		.amdhsa_system_sgpr_workgroup_id_x 1
		.amdhsa_system_sgpr_workgroup_id_y 0
		.amdhsa_system_sgpr_workgroup_id_z 0
		.amdhsa_system_sgpr_workgroup_info 0
		.amdhsa_system_vgpr_workitem_id 0
		.amdhsa_next_free_vgpr 23
		.amdhsa_next_free_sgpr 10
		.amdhsa_reserve_vcc 1
		.amdhsa_float_round_mode_32 0
		.amdhsa_float_round_mode_16_64 0
		.amdhsa_float_denorm_mode_32 3
		.amdhsa_float_denorm_mode_16_64 3
		.amdhsa_fp16_overflow 0
		.amdhsa_workgroup_processor_mode 1
		.amdhsa_memory_ordered 1
		.amdhsa_forward_progress 1
		.amdhsa_inst_pref_size 12
		.amdhsa_round_robin_scheduling 0
		.amdhsa_exception_fp_ieee_invalid_op 0
		.amdhsa_exception_fp_denorm_src 0
		.amdhsa_exception_fp_ieee_div_zero 0
		.amdhsa_exception_fp_ieee_overflow 0
		.amdhsa_exception_fp_ieee_underflow 0
		.amdhsa_exception_fp_ieee_inexact 0
		.amdhsa_exception_int_div_zero 0
	.end_amdhsa_kernel
	.section	.text._Z30fast_hadamard_transform_kernelI37fast_hadamard_transform_kernel_traitsILi8ELi6E14__hip_bfloat16EEv18HadamardParamsBase,"axG",@progbits,_Z30fast_hadamard_transform_kernelI37fast_hadamard_transform_kernel_traitsILi8ELi6E14__hip_bfloat16EEv18HadamardParamsBase,comdat
.Lfunc_end29:
	.size	_Z30fast_hadamard_transform_kernelI37fast_hadamard_transform_kernel_traitsILi8ELi6E14__hip_bfloat16EEv18HadamardParamsBase, .Lfunc_end29-_Z30fast_hadamard_transform_kernelI37fast_hadamard_transform_kernel_traitsILi8ELi6E14__hip_bfloat16EEv18HadamardParamsBase
                                        ; -- End function
	.set _Z30fast_hadamard_transform_kernelI37fast_hadamard_transform_kernel_traitsILi8ELi6E14__hip_bfloat16EEv18HadamardParamsBase.num_vgpr, 23
	.set _Z30fast_hadamard_transform_kernelI37fast_hadamard_transform_kernel_traitsILi8ELi6E14__hip_bfloat16EEv18HadamardParamsBase.num_agpr, 0
	.set _Z30fast_hadamard_transform_kernelI37fast_hadamard_transform_kernel_traitsILi8ELi6E14__hip_bfloat16EEv18HadamardParamsBase.numbered_sgpr, 10
	.set _Z30fast_hadamard_transform_kernelI37fast_hadamard_transform_kernel_traitsILi8ELi6E14__hip_bfloat16EEv18HadamardParamsBase.num_named_barrier, 0
	.set _Z30fast_hadamard_transform_kernelI37fast_hadamard_transform_kernel_traitsILi8ELi6E14__hip_bfloat16EEv18HadamardParamsBase.private_seg_size, 0
	.set _Z30fast_hadamard_transform_kernelI37fast_hadamard_transform_kernel_traitsILi8ELi6E14__hip_bfloat16EEv18HadamardParamsBase.uses_vcc, 1
	.set _Z30fast_hadamard_transform_kernelI37fast_hadamard_transform_kernel_traitsILi8ELi6E14__hip_bfloat16EEv18HadamardParamsBase.uses_flat_scratch, 0
	.set _Z30fast_hadamard_transform_kernelI37fast_hadamard_transform_kernel_traitsILi8ELi6E14__hip_bfloat16EEv18HadamardParamsBase.has_dyn_sized_stack, 0
	.set _Z30fast_hadamard_transform_kernelI37fast_hadamard_transform_kernel_traitsILi8ELi6E14__hip_bfloat16EEv18HadamardParamsBase.has_recursion, 0
	.set _Z30fast_hadamard_transform_kernelI37fast_hadamard_transform_kernel_traitsILi8ELi6E14__hip_bfloat16EEv18HadamardParamsBase.has_indirect_call, 0
	.section	.AMDGPU.csdata,"",@progbits
; Kernel info:
; codeLenInByte = 1440
; TotalNumSgprs: 12
; NumVgprs: 23
; ScratchSize: 0
; MemoryBound: 0
; FloatMode: 240
; IeeeMode: 1
; LDSByteSize: 0 bytes/workgroup (compile time only)
; SGPRBlocks: 0
; VGPRBlocks: 2
; NumSGPRsForWavesPerEU: 12
; NumVGPRsForWavesPerEU: 23
; Occupancy: 16
; WaveLimiterHint : 0
; COMPUTE_PGM_RSRC2:SCRATCH_EN: 0
; COMPUTE_PGM_RSRC2:USER_SGPR: 2
; COMPUTE_PGM_RSRC2:TRAP_HANDLER: 0
; COMPUTE_PGM_RSRC2:TGID_X_EN: 1
; COMPUTE_PGM_RSRC2:TGID_Y_EN: 0
; COMPUTE_PGM_RSRC2:TGID_Z_EN: 0
; COMPUTE_PGM_RSRC2:TIDIG_COMP_CNT: 0
	.section	.text._Z30fast_hadamard_transform_kernelI37fast_hadamard_transform_kernel_traitsILi16ELi7E14__hip_bfloat16EEv18HadamardParamsBase,"axG",@progbits,_Z30fast_hadamard_transform_kernelI37fast_hadamard_transform_kernel_traitsILi16ELi7E14__hip_bfloat16EEv18HadamardParamsBase,comdat
	.protected	_Z30fast_hadamard_transform_kernelI37fast_hadamard_transform_kernel_traitsILi16ELi7E14__hip_bfloat16EEv18HadamardParamsBase ; -- Begin function _Z30fast_hadamard_transform_kernelI37fast_hadamard_transform_kernel_traitsILi16ELi7E14__hip_bfloat16EEv18HadamardParamsBase
	.globl	_Z30fast_hadamard_transform_kernelI37fast_hadamard_transform_kernel_traitsILi16ELi7E14__hip_bfloat16EEv18HadamardParamsBase
	.p2align	8
	.type	_Z30fast_hadamard_transform_kernelI37fast_hadamard_transform_kernel_traitsILi16ELi7E14__hip_bfloat16EEv18HadamardParamsBase,@function
_Z30fast_hadamard_transform_kernelI37fast_hadamard_transform_kernel_traitsILi16ELi7E14__hip_bfloat16EEv18HadamardParamsBase: ; @_Z30fast_hadamard_transform_kernelI37fast_hadamard_transform_kernel_traitsILi16ELi7E14__hip_bfloat16EEv18HadamardParamsBase
; %bb.0:
	s_load_b32 s2, s[0:1], 0x4
	v_dual_mov_b32 v6, 0 :: v_dual_lshlrev_b32 v9, 3, v0
	v_dual_mov_b32 v2, 0 :: v_dual_mov_b32 v3, 0
	v_dual_mov_b32 v4, 0 :: v_dual_mov_b32 v5, 0
	;; [unrolled: 1-line block ×3, first 2 shown]
	v_lshlrev_b32_e32 v1, 4, v0
	s_mov_b32 s8, ttmp9
	s_ashr_i32 s9, ttmp9, 31
	s_wait_kmcnt 0x0
	v_cmp_gt_u32_e32 vcc_lo, s2, v9
	v_mov_b32_e32 v9, 0
	s_and_saveexec_b32 s2, vcc_lo
	s_cbranch_execz .LBB30_2
; %bb.1:
	s_clause 0x1
	s_load_b64 s[4:5], s[0:1], 0x10
	s_load_b64 s[6:7], s[0:1], 0x28
	s_wait_kmcnt 0x0
	s_mul_u64 s[4:5], s[4:5], s[8:9]
	s_delay_alu instid0(SALU_CYCLE_1) | instskip(NEXT) | instid1(SALU_CYCLE_1)
	s_lshl_b64 s[4:5], s[4:5], 1
	s_add_nc_u64 s[4:5], s[6:7], s[4:5]
	global_load_b128 v[10:13], v1, s[4:5]
	s_wait_loadcnt 0x0
	v_lshlrev_b32_e32 v9, 16, v10
	v_and_b32_e32 v8, 0xffff0000, v10
	v_lshlrev_b32_e32 v7, 16, v11
	v_and_b32_e32 v6, 0xffff0000, v11
	;; [unrolled: 2-line block ×4, first 2 shown]
.LBB30_2:
	s_wait_alu 0xfffe
	s_or_b32 exec_lo, exec_lo, s2
	v_add_f32_e32 v10, v8, v9
	v_mbcnt_lo_u32_b32 v11, -1, 0
	v_dual_sub_f32 v8, v9, v8 :: v_dual_add_f32 v13, v2, v3
	v_dual_add_f32 v9, v6, v7 :: v_dual_add_f32 v12, v4, v5
	s_delay_alu instid0(VALU_DEP_3) | instskip(SKIP_2) | instid1(VALU_DEP_4)
	v_xor_b32_e32 v14, 1, v11
	v_sub_f32_e32 v4, v5, v4
	v_xor_b32_e32 v20, 2, v11
	v_add_f32_e32 v5, v9, v10
	v_dual_sub_f32 v6, v7, v6 :: v_dual_add_f32 v7, v13, v12
	v_cmp_gt_i32_e64 s2, 32, v14
	v_dual_sub_f32 v2, v3, v2 :: v_dual_sub_f32 v3, v10, v9
	s_delay_alu instid0(VALU_DEP_3) | instskip(SKIP_4) | instid1(VALU_DEP_3)
	v_dual_add_f32 v9, v6, v8 :: v_dual_sub_f32 v6, v8, v6
	v_dual_sub_f32 v8, v12, v13 :: v_dual_and_b32 v17, 1, v0
	s_wait_alu 0xf1ff
	v_cndmask_b32_e64 v14, v11, v14, s2
	v_dual_add_f32 v10, v7, v5 :: v_dual_sub_f32 v5, v5, v7
	v_cmp_eq_u32_e64 s2, 0, v17
	v_add_f32_e32 v15, v8, v3
	v_sub_f32_e32 v3, v3, v8
	v_cmp_gt_i32_e64 s3, 32, v20
	s_wait_alu 0xf1ff
	s_delay_alu instid0(VALU_DEP_3) | instskip(SKIP_3) | instid1(VALU_DEP_3)
	v_cndmask_b32_e64 v8, -v15, v15, s2
	v_add_f32_e32 v12, v2, v4
	v_lshlrev_b32_e32 v14, 2, v14
	v_sub_f32_e32 v2, v4, v2
	v_add_f32_e32 v13, v12, v9
	ds_bpermute_b32 v21, v14, v5
	ds_bpermute_b32 v4, v14, v10
	;; [unrolled: 1-line block ×3, first 2 shown]
	v_cndmask_b32_e64 v5, -v5, v5, s2
	v_add_f32_e32 v16, v2, v6
	ds_bpermute_b32 v7, v14, v13
	v_cndmask_b32_e64 v10, -v10, v10, s2
	v_sub_f32_e32 v2, v6, v2
	v_cndmask_b32_e64 v6, -v13, v13, s2
	ds_bpermute_b32 v13, v14, v3
	v_cndmask_b32_e64 v15, v11, v20, s3
	v_cndmask_b32_e64 v3, -v3, v3, s2
	s_wait_dscnt 0x4
	v_dual_add_f32 v5, v5, v21 :: v_dual_and_b32 v20, 4, v0
	ds_bpermute_b32 v19, v14, v16
	s_wait_dscnt 0x4
	v_add_f32_e32 v4, v10, v4
	v_cndmask_b32_e64 v10, -v16, v16, s2
	s_wait_dscnt 0x2
	v_dual_add_f32 v6, v6, v7 :: v_dual_add_f32 v7, v8, v18
	v_sub_f32_e32 v9, v9, v12
	s_wait_dscnt 0x1
	v_add_f32_e32 v3, v3, v13
	ds_bpermute_b32 v12, v14, v9
	v_cndmask_b32_e64 v9, -v9, v9, s2
	ds_bpermute_b32 v14, v14, v2
	v_cndmask_b32_e64 v2, -v2, v2, s2
	s_wait_dscnt 0x2
	v_add_f32_e32 v8, v10, v19
	v_lshlrev_b32_e32 v10, 2, v15
	v_and_b32_e32 v15, 2, v0
	ds_bpermute_b32 v18, v10, v7
	v_cmp_eq_u32_e64 s2, 0, v15
	s_wait_dscnt 0x2
	v_add_f32_e32 v9, v9, v12
	s_wait_alu 0xf1ff
	s_delay_alu instid0(VALU_DEP_2) | instskip(SKIP_1) | instid1(VALU_DEP_1)
	v_cndmask_b32_e64 v7, -v7, v7, s2
	v_xor_b32_e32 v12, 4, v11
	v_cmp_gt_i32_e64 s3, 32, v12
	s_wait_alu 0xf1ff
	s_delay_alu instid0(VALU_DEP_1)
	v_cndmask_b32_e64 v12, v11, v12, s3
	s_wait_dscnt 0x0
	v_add_f32_e32 v7, v7, v18
	ds_bpermute_b32 v13, v10, v5
	v_cndmask_b32_e64 v5, -v5, v5, s2
	v_add_f32_e32 v2, v2, v14
	ds_bpermute_b32 v16, v10, v4
	ds_bpermute_b32 v17, v10, v6
	;; [unrolled: 1-line block ×3, first 2 shown]
	v_cndmask_b32_e64 v4, -v4, v4, s2
	v_cndmask_b32_e64 v6, -v6, v6, s2
	ds_bpermute_b32 v14, v10, v9
	ds_bpermute_b32 v15, v10, v3
	v_cndmask_b32_e64 v8, -v8, v8, s2
	v_cndmask_b32_e64 v9, -v9, v9, s2
	;; [unrolled: 1-line block ×3, first 2 shown]
	s_wait_dscnt 0x5
	v_add_f32_e32 v13, v5, v13
	ds_bpermute_b32 v10, v10, v2
	v_cndmask_b32_e64 v2, -v2, v2, s2
	v_cmp_eq_u32_e64 s2, 0, v20
	s_wait_dscnt 0x5
	v_add_f32_e32 v4, v4, v16
	s_wait_dscnt 0x3
	v_add_f32_e32 v8, v8, v19
	v_add_f32_e32 v6, v6, v17
	s_wait_alu 0xf1ff
	v_cndmask_b32_e64 v5, -v7, v7, s2
	s_wait_dscnt 0x2
	v_dual_add_f32 v9, v9, v14 :: v_dual_lshlrev_b32 v12, 2, v12
	s_wait_dscnt 0x1
	v_add_f32_e32 v3, v3, v15
	ds_bpermute_b32 v18, v12, v7
	s_wait_dscnt 0x0
	v_add_f32_e32 v5, v5, v18
	ds_bpermute_b32 v19, v12, v8
	ds_bpermute_b32 v14, v12, v13
	;; [unrolled: 1-line block ×4, first 2 shown]
	v_cndmask_b32_e64 v3, -v3, v3, s2
	v_add_f32_e32 v10, v2, v10
	ds_bpermute_b32 v16, v12, v4
	ds_bpermute_b32 v17, v12, v6
	v_cndmask_b32_e64 v2, -v4, v4, s2
	v_cndmask_b32_e64 v4, -v6, v6, s2
	ds_bpermute_b32 v21, v12, v10
	v_cndmask_b32_e64 v6, -v8, v8, s2
	v_xor_b32_e32 v8, 8, v11
	v_cndmask_b32_e64 v9, -v9, v9, s2
	s_delay_alu instid0(VALU_DEP_2) | instskip(SKIP_3) | instid1(VALU_DEP_2)
	v_cmp_gt_i32_e64 s3, 32, v8
	s_wait_dscnt 0x6
	v_add_f32_e32 v7, v6, v19
	s_wait_alu 0xf1ff
	v_cndmask_b32_e64 v6, v11, v8, s3
	v_cndmask_b32_e64 v8, -v13, v13, s2
	s_wait_dscnt 0x2
	v_add_f32_e32 v2, v2, v16
	s_wait_dscnt 0x1
	v_add_f32_e32 v4, v4, v17
	v_add_f32_e32 v12, v8, v14
	v_dual_add_f32 v14, v9, v15 :: v_dual_add_f32 v15, v3, v20
	v_cndmask_b32_e64 v10, -v10, v10, s2
	s_wait_dscnt 0x0
	s_delay_alu instid0(VALU_DEP_1)
	v_dual_add_f32 v16, v10, v21 :: v_dual_lshlrev_b32 v17, 2, v6
	ds_bpermute_b32 v3, v17, v2
	ds_bpermute_b32 v6, v17, v4
	;; [unrolled: 1-line block ×8, first 2 shown]
	s_and_saveexec_b32 s2, vcc_lo
	s_cbranch_execz .LBB30_4
; %bb.3:
	v_and_b32_e32 v0, 8, v0
	s_clause 0x1
	s_load_b96 s[4:6], s[0:1], 0x18
	s_load_b64 s[0:1], s[0:1], 0x30
	s_delay_alu instid0(VALU_DEP_1)
	v_cmp_eq_u32_e32 vcc_lo, 0, v0
	v_cndmask_b32_e64 v0, -v16, v16, vcc_lo
	v_cndmask_b32_e64 v15, -v15, v15, vcc_lo
	;; [unrolled: 1-line block ×5, first 2 shown]
	s_wait_dscnt 0x0
	v_add_f32_e32 v0, v0, v17
	v_cndmask_b32_e64 v4, -v4, v4, vcc_lo
	v_cndmask_b32_e64 v2, -v2, v2, vcc_lo
	v_add_f32_e32 v13, v15, v13
	v_add_f32_e32 v11, v14, v11
	v_cndmask_b32_e64 v7, -v7, v7, vcc_lo
	s_wait_kmcnt 0x0
	v_mul_f32_e32 v0, s6, v0
	v_dual_add_f32 v10, v12, v10 :: v_dual_add_f32 v5, v5, v8
	v_add_f32_e32 v4, v4, v6
	v_mul_f32_e32 v6, s6, v13
	v_add_f32_e32 v2, v2, v3
	v_mul_f32_e32 v3, s6, v11
	v_bfe_u32 v8, v0, 16, 1
	v_add_f32_e32 v7, v7, v9
	v_mul_f32_e32 v9, s6, v10
	v_bfe_u32 v10, v6, 16, 1
	v_or_b32_e32 v11, 0x400000, v0
	v_add3_u32 v8, v8, v0, 0x7fff
	v_cmp_u_f32_e32 vcc_lo, v0, v0
	v_or_b32_e32 v12, 0x400000, v6
	v_bfe_u32 v13, v3, 16, 1
	v_add3_u32 v10, v10, v6, 0x7fff
	v_bfe_u32 v14, v9, 16, 1
	s_wait_alu 0xfffd
	v_cndmask_b32_e32 v0, v8, v11, vcc_lo
	v_cmp_u_f32_e32 vcc_lo, v6, v6
	v_add3_u32 v8, v13, v3, 0x7fff
	v_mul_f32_e32 v7, s6, v7
	v_add3_u32 v11, v14, v9, 0x7fff
	v_dual_mul_f32 v5, s6, v5 :: v_dual_mul_f32 v4, s6, v4
	s_wait_alu 0xfffd
	v_cndmask_b32_e32 v6, v10, v12, vcc_lo
	v_or_b32_e32 v10, 0x400000, v3
	v_cmp_u_f32_e32 vcc_lo, v3, v3
	v_or_b32_e32 v12, 0x400000, v9
	v_or_b32_e32 v13, 0x400000, v4
	s_mul_u64 s[2:3], s[4:5], s[8:9]
	s_wait_alu 0xfffd
	v_cndmask_b32_e32 v3, v8, v10, vcc_lo
	v_bfe_u32 v8, v7, 16, 1
	v_cmp_u_f32_e32 vcc_lo, v9, v9
	v_or_b32_e32 v10, 0x400000, v7
	s_wait_alu 0xfffe
	s_lshl_b64 s[2:3], s[2:3], 1
	v_add3_u32 v8, v8, v7, 0x7fff
	s_wait_alu 0xfffd
	v_cndmask_b32_e32 v9, v11, v12, vcc_lo
	v_bfe_u32 v11, v5, 16, 1
	v_cmp_u_f32_e32 vcc_lo, v7, v7
	v_bfe_u32 v12, v4, 16, 1
	s_wait_alu 0xfffe
	s_add_nc_u64 s[0:1], s[0:1], s[2:3]
	s_wait_alu 0xfffd
	v_cndmask_b32_e32 v7, v8, v10, vcc_lo
	v_add3_u32 v10, v11, v5, 0x7fff
	v_or_b32_e32 v11, 0x400000, v5
	v_cmp_u_f32_e32 vcc_lo, v5, v5
	v_add3_u32 v12, v12, v4, 0x7fff
	v_perm_b32 v5, v0, v6, 0x7060302
	s_wait_alu 0xfffd
	v_cndmask_b32_e32 v10, v10, v11, vcc_lo
	v_cmp_u_f32_e32 vcc_lo, v4, v4
	v_mul_f32_e32 v2, s6, v2
	v_perm_b32 v4, v3, v9, 0x7060302
	s_delay_alu instid0(VALU_DEP_4)
	v_perm_b32 v3, v7, v10, 0x7060302
	s_wait_alu 0xfffd
	v_cndmask_b32_e32 v11, v12, v13, vcc_lo
	v_bfe_u32 v8, v2, 16, 1
	v_or_b32_e32 v14, 0x400000, v2
	v_cmp_u_f32_e32 vcc_lo, v2, v2
	s_delay_alu instid0(VALU_DEP_3) | instskip(SKIP_1) | instid1(VALU_DEP_1)
	v_add3_u32 v8, v8, v2, 0x7fff
	s_wait_alu 0xfffd
	v_cndmask_b32_e32 v2, v8, v14, vcc_lo
	s_delay_alu instid0(VALU_DEP_1)
	v_perm_b32 v2, v11, v2, 0x7060302
	global_store_b128 v1, v[2:5], s[0:1]
.LBB30_4:
	s_endpgm
	.section	.rodata,"a",@progbits
	.p2align	6, 0x0
	.amdhsa_kernel _Z30fast_hadamard_transform_kernelI37fast_hadamard_transform_kernel_traitsILi16ELi7E14__hip_bfloat16EEv18HadamardParamsBase
		.amdhsa_group_segment_fixed_size 0
		.amdhsa_private_segment_fixed_size 0
		.amdhsa_kernarg_size 56
		.amdhsa_user_sgpr_count 2
		.amdhsa_user_sgpr_dispatch_ptr 0
		.amdhsa_user_sgpr_queue_ptr 0
		.amdhsa_user_sgpr_kernarg_segment_ptr 1
		.amdhsa_user_sgpr_dispatch_id 0
		.amdhsa_user_sgpr_private_segment_size 0
		.amdhsa_wavefront_size32 1
		.amdhsa_uses_dynamic_stack 0
		.amdhsa_enable_private_segment 0
		.amdhsa_system_sgpr_workgroup_id_x 1
		.amdhsa_system_sgpr_workgroup_id_y 0
		.amdhsa_system_sgpr_workgroup_id_z 0
		.amdhsa_system_sgpr_workgroup_info 0
		.amdhsa_system_vgpr_workitem_id 0
		.amdhsa_next_free_vgpr 22
		.amdhsa_next_free_sgpr 10
		.amdhsa_reserve_vcc 1
		.amdhsa_float_round_mode_32 0
		.amdhsa_float_round_mode_16_64 0
		.amdhsa_float_denorm_mode_32 3
		.amdhsa_float_denorm_mode_16_64 3
		.amdhsa_fp16_overflow 0
		.amdhsa_workgroup_processor_mode 1
		.amdhsa_memory_ordered 1
		.amdhsa_forward_progress 1
		.amdhsa_inst_pref_size 14
		.amdhsa_round_robin_scheduling 0
		.amdhsa_exception_fp_ieee_invalid_op 0
		.amdhsa_exception_fp_denorm_src 0
		.amdhsa_exception_fp_ieee_div_zero 0
		.amdhsa_exception_fp_ieee_overflow 0
		.amdhsa_exception_fp_ieee_underflow 0
		.amdhsa_exception_fp_ieee_inexact 0
		.amdhsa_exception_int_div_zero 0
	.end_amdhsa_kernel
	.section	.text._Z30fast_hadamard_transform_kernelI37fast_hadamard_transform_kernel_traitsILi16ELi7E14__hip_bfloat16EEv18HadamardParamsBase,"axG",@progbits,_Z30fast_hadamard_transform_kernelI37fast_hadamard_transform_kernel_traitsILi16ELi7E14__hip_bfloat16EEv18HadamardParamsBase,comdat
.Lfunc_end30:
	.size	_Z30fast_hadamard_transform_kernelI37fast_hadamard_transform_kernel_traitsILi16ELi7E14__hip_bfloat16EEv18HadamardParamsBase, .Lfunc_end30-_Z30fast_hadamard_transform_kernelI37fast_hadamard_transform_kernel_traitsILi16ELi7E14__hip_bfloat16EEv18HadamardParamsBase
                                        ; -- End function
	.set _Z30fast_hadamard_transform_kernelI37fast_hadamard_transform_kernel_traitsILi16ELi7E14__hip_bfloat16EEv18HadamardParamsBase.num_vgpr, 22
	.set _Z30fast_hadamard_transform_kernelI37fast_hadamard_transform_kernel_traitsILi16ELi7E14__hip_bfloat16EEv18HadamardParamsBase.num_agpr, 0
	.set _Z30fast_hadamard_transform_kernelI37fast_hadamard_transform_kernel_traitsILi16ELi7E14__hip_bfloat16EEv18HadamardParamsBase.numbered_sgpr, 10
	.set _Z30fast_hadamard_transform_kernelI37fast_hadamard_transform_kernel_traitsILi16ELi7E14__hip_bfloat16EEv18HadamardParamsBase.num_named_barrier, 0
	.set _Z30fast_hadamard_transform_kernelI37fast_hadamard_transform_kernel_traitsILi16ELi7E14__hip_bfloat16EEv18HadamardParamsBase.private_seg_size, 0
	.set _Z30fast_hadamard_transform_kernelI37fast_hadamard_transform_kernel_traitsILi16ELi7E14__hip_bfloat16EEv18HadamardParamsBase.uses_vcc, 1
	.set _Z30fast_hadamard_transform_kernelI37fast_hadamard_transform_kernel_traitsILi16ELi7E14__hip_bfloat16EEv18HadamardParamsBase.uses_flat_scratch, 0
	.set _Z30fast_hadamard_transform_kernelI37fast_hadamard_transform_kernel_traitsILi16ELi7E14__hip_bfloat16EEv18HadamardParamsBase.has_dyn_sized_stack, 0
	.set _Z30fast_hadamard_transform_kernelI37fast_hadamard_transform_kernel_traitsILi16ELi7E14__hip_bfloat16EEv18HadamardParamsBase.has_recursion, 0
	.set _Z30fast_hadamard_transform_kernelI37fast_hadamard_transform_kernel_traitsILi16ELi7E14__hip_bfloat16EEv18HadamardParamsBase.has_indirect_call, 0
	.section	.AMDGPU.csdata,"",@progbits
; Kernel info:
; codeLenInByte = 1676
; TotalNumSgprs: 12
; NumVgprs: 22
; ScratchSize: 0
; MemoryBound: 0
; FloatMode: 240
; IeeeMode: 1
; LDSByteSize: 0 bytes/workgroup (compile time only)
; SGPRBlocks: 0
; VGPRBlocks: 2
; NumSGPRsForWavesPerEU: 12
; NumVGPRsForWavesPerEU: 22
; Occupancy: 16
; WaveLimiterHint : 0
; COMPUTE_PGM_RSRC2:SCRATCH_EN: 0
; COMPUTE_PGM_RSRC2:USER_SGPR: 2
; COMPUTE_PGM_RSRC2:TRAP_HANDLER: 0
; COMPUTE_PGM_RSRC2:TGID_X_EN: 1
; COMPUTE_PGM_RSRC2:TGID_Y_EN: 0
; COMPUTE_PGM_RSRC2:TGID_Z_EN: 0
; COMPUTE_PGM_RSRC2:TIDIG_COMP_CNT: 0
	.section	.text._Z30fast_hadamard_transform_kernelI37fast_hadamard_transform_kernel_traitsILi32ELi8E14__hip_bfloat16EEv18HadamardParamsBase,"axG",@progbits,_Z30fast_hadamard_transform_kernelI37fast_hadamard_transform_kernel_traitsILi32ELi8E14__hip_bfloat16EEv18HadamardParamsBase,comdat
	.protected	_Z30fast_hadamard_transform_kernelI37fast_hadamard_transform_kernel_traitsILi32ELi8E14__hip_bfloat16EEv18HadamardParamsBase ; -- Begin function _Z30fast_hadamard_transform_kernelI37fast_hadamard_transform_kernel_traitsILi32ELi8E14__hip_bfloat16EEv18HadamardParamsBase
	.globl	_Z30fast_hadamard_transform_kernelI37fast_hadamard_transform_kernel_traitsILi32ELi8E14__hip_bfloat16EEv18HadamardParamsBase
	.p2align	8
	.type	_Z30fast_hadamard_transform_kernelI37fast_hadamard_transform_kernel_traitsILi32ELi8E14__hip_bfloat16EEv18HadamardParamsBase,@function
_Z30fast_hadamard_transform_kernelI37fast_hadamard_transform_kernel_traitsILi32ELi8E14__hip_bfloat16EEv18HadamardParamsBase: ; @_Z30fast_hadamard_transform_kernelI37fast_hadamard_transform_kernel_traitsILi32ELi8E14__hip_bfloat16EEv18HadamardParamsBase
; %bb.0:
	s_load_b32 s2, s[0:1], 0x4
	v_dual_mov_b32 v6, 0 :: v_dual_lshlrev_b32 v9, 3, v0
	v_dual_mov_b32 v2, 0 :: v_dual_mov_b32 v3, 0
	v_dual_mov_b32 v4, 0 :: v_dual_mov_b32 v5, 0
	;; [unrolled: 1-line block ×3, first 2 shown]
	v_lshlrev_b32_e32 v1, 4, v0
	s_mov_b32 s8, ttmp9
	s_ashr_i32 s9, ttmp9, 31
	s_wait_kmcnt 0x0
	v_cmp_gt_u32_e32 vcc_lo, s2, v9
	v_mov_b32_e32 v9, 0
	s_and_saveexec_b32 s2, vcc_lo
	s_cbranch_execz .LBB31_2
; %bb.1:
	s_clause 0x1
	s_load_b64 s[4:5], s[0:1], 0x10
	s_load_b64 s[6:7], s[0:1], 0x28
	s_wait_kmcnt 0x0
	s_mul_u64 s[4:5], s[4:5], s[8:9]
	s_delay_alu instid0(SALU_CYCLE_1) | instskip(NEXT) | instid1(SALU_CYCLE_1)
	s_lshl_b64 s[4:5], s[4:5], 1
	s_add_nc_u64 s[4:5], s[6:7], s[4:5]
	global_load_b128 v[10:13], v1, s[4:5]
	s_wait_loadcnt 0x0
	v_lshlrev_b32_e32 v9, 16, v10
	v_and_b32_e32 v8, 0xffff0000, v10
	v_lshlrev_b32_e32 v7, 16, v11
	v_and_b32_e32 v6, 0xffff0000, v11
	;; [unrolled: 2-line block ×4, first 2 shown]
.LBB31_2:
	s_wait_alu 0xfffe
	s_or_b32 exec_lo, exec_lo, s2
	v_mbcnt_lo_u32_b32 v10, -1, 0
	v_dual_add_f32 v11, v8, v9 :: v_dual_add_f32 v12, v6, v7
	v_dual_add_f32 v13, v4, v5 :: v_dual_add_f32 v14, v2, v3
	s_delay_alu instid0(VALU_DEP_3) | instskip(NEXT) | instid1(VALU_DEP_3)
	v_xor_b32_e32 v15, 1, v10
	v_dual_sub_f32 v8, v9, v8 :: v_dual_add_f32 v9, v12, v11
	v_sub_f32_e32 v4, v5, v4
	s_delay_alu instid0(VALU_DEP_3) | instskip(SKIP_1) | instid1(VALU_DEP_1)
	v_cmp_gt_i32_e64 s2, 32, v15
	s_wait_alu 0xf1ff
	v_cndmask_b32_e64 v15, v10, v15, s2
	v_dual_add_f32 v16, v14, v13 :: v_dual_sub_f32 v13, v13, v14
	v_xor_b32_e32 v14, 2, v10
	s_delay_alu instid0(VALU_DEP_3) | instskip(NEXT) | instid1(VALU_DEP_3)
	v_dual_sub_f32 v6, v7, v6 :: v_dual_lshlrev_b32 v5, 2, v15
	v_dual_sub_f32 v2, v3, v2 :: v_dual_add_f32 v3, v16, v9
	v_sub_f32_e32 v7, v11, v12
	s_delay_alu instid0(VALU_DEP_4) | instskip(NEXT) | instid1(VALU_DEP_4)
	v_cmp_gt_i32_e64 s3, 32, v14
	v_dual_add_f32 v11, v6, v8 :: v_dual_sub_f32 v6, v8, v6
	s_delay_alu instid0(VALU_DEP_4)
	v_add_f32_e32 v8, v2, v4
	ds_bpermute_b32 v12, v5, v3
	v_add_f32_e32 v17, v13, v7
	v_sub_f32_e32 v9, v9, v16
	v_add_f32_e32 v15, v8, v11
	v_sub_f32_e32 v2, v4, v2
	v_sub_f32_e32 v8, v11, v8
	ds_bpermute_b32 v16, v5, v17
	ds_bpermute_b32 v20, v5, v9
	;; [unrolled: 1-line block ×3, first 2 shown]
	v_and_b32_e32 v4, 1, v0
	v_add_f32_e32 v18, v2, v6
	s_delay_alu instid0(VALU_DEP_2)
	v_cmp_eq_u32_e64 s2, 0, v4
	ds_bpermute_b32 v19, v5, v18
	s_wait_alu 0xf1ff
	v_cndmask_b32_e64 v3, -v3, v3, s2
	v_sub_f32_e32 v2, v6, v2
	v_cndmask_b32_e64 v6, v10, v14, s3
	ds_bpermute_b32 v14, v5, v8
	v_cndmask_b32_e64 v9, -v9, v9, s2
	s_wait_dscnt 0x5
	v_add_f32_e32 v3, v3, v12
	v_cndmask_b32_e64 v12, -v17, v17, s2
	v_sub_f32_e32 v4, v7, v13
	v_cndmask_b32_e64 v7, -v15, v15, s2
	v_cndmask_b32_e64 v13, -v18, v18, s2
	s_wait_dscnt 0x3
	v_dual_add_f32 v9, v9, v20 :: v_dual_lshlrev_b32 v6, 2, v6
	v_cndmask_b32_e64 v8, -v8, v8, s2
	s_wait_dscnt 0x2
	v_add_f32_e32 v7, v7, v11
	v_add_f32_e32 v11, v12, v16
	ds_bpermute_b32 v15, v5, v4
	ds_bpermute_b32 v5, v5, v2
	;; [unrolled: 1-line block ×3, first 2 shown]
	s_wait_dscnt 0x4
	v_dual_add_f32 v12, v13, v19 :: v_dual_and_b32 v13, 2, v0
	v_cndmask_b32_e64 v4, -v4, v4, s2
	v_cndmask_b32_e64 v2, -v2, v2, s2
	ds_bpermute_b32 v16, v6, v7
	ds_bpermute_b32 v18, v6, v11
	v_cmp_eq_u32_e64 s2, 0, v13
	ds_bpermute_b32 v19, v6, v12
	ds_bpermute_b32 v13, v6, v9
	s_wait_alu 0xf1ff
	v_cndmask_b32_e64 v3, -v3, v3, s2
	s_wait_dscnt 0x7
	v_add_f32_e32 v8, v8, v14
	v_cndmask_b32_e64 v12, -v12, v12, s2
	v_cndmask_b32_e64 v9, -v9, v9, s2
	s_wait_dscnt 0x5
	v_add_f32_e32 v2, v2, v5
	v_cndmask_b32_e64 v5, -v7, v7, s2
	v_cndmask_b32_e64 v7, -v11, v11, s2
	v_xor_b32_e32 v11, 4, v10
	s_wait_dscnt 0x4
	v_dual_add_f32 v4, v4, v15 :: v_dual_add_f32 v3, v3, v17
	ds_bpermute_b32 v14, v6, v8
	s_wait_dscnt 0x4
	v_add_f32_e32 v5, v5, v16
	v_cmp_gt_i32_e64 s3, 32, v11
	ds_bpermute_b32 v15, v6, v4
	s_wait_dscnt 0x4
	v_add_f32_e32 v7, v7, v18
	ds_bpermute_b32 v6, v6, v2
	s_wait_dscnt 0x3
	v_dual_add_f32 v12, v12, v19 :: v_dual_add_f32 v9, v9, v13
	s_wait_alu 0xf1ff
	v_cndmask_b32_e64 v11, v10, v11, s3
	v_cndmask_b32_e64 v8, -v8, v8, s2
	v_and_b32_e32 v13, 4, v0
	v_cndmask_b32_e64 v4, -v4, v4, s2
	v_cndmask_b32_e64 v2, -v2, v2, s2
	v_lshlrev_b32_e32 v11, 2, v11
	ds_bpermute_b32 v16, v11, v3
	ds_bpermute_b32 v17, v11, v5
	s_wait_dscnt 0x4
	v_add_f32_e32 v8, v8, v14
	v_cmp_eq_u32_e64 s2, 0, v13
	ds_bpermute_b32 v18, v11, v7
	ds_bpermute_b32 v19, v11, v12
	;; [unrolled: 1-line block ×4, first 2 shown]
	s_wait_alu 0xf1ff
	v_cndmask_b32_e64 v3, -v3, v3, s2
	s_wait_dscnt 0x7
	v_add_f32_e32 v4, v4, v15
	v_cndmask_b32_e64 v5, -v5, v5, s2
	s_wait_dscnt 0x6
	v_add_f32_e32 v2, v2, v6
	v_cndmask_b32_e64 v6, -v7, v7, s2
	v_xor_b32_e32 v7, 8, v10
	v_cndmask_b32_e64 v12, -v12, v12, s2
	v_cndmask_b32_e64 v9, -v9, v9, s2
	;; [unrolled: 1-line block ×3, first 2 shown]
	s_delay_alu instid0(VALU_DEP_4)
	v_cmp_gt_i32_e64 s3, 32, v7
	s_wait_dscnt 0x5
	v_add_f32_e32 v3, v3, v16
	ds_bpermute_b32 v15, v11, v4
	s_wait_dscnt 0x5
	v_add_f32_e32 v5, v5, v17
	ds_bpermute_b32 v11, v11, v2
	s_wait_alu 0xf1ff
	v_cndmask_b32_e64 v7, v10, v7, s3
	s_wait_dscnt 0x5
	v_add_f32_e32 v6, v6, v18
	s_wait_dscnt 0x3
	v_dual_add_f32 v12, v12, v19 :: v_dual_add_f32 v9, v9, v13
	v_cndmask_b32_e64 v4, -v4, v4, s2
	v_lshlrev_b32_e32 v7, 2, v7
	v_cndmask_b32_e64 v2, -v2, v2, s2
	v_and_b32_e32 v20, 8, v0
	s_wait_dscnt 0x2
	v_add_f32_e32 v8, v8, v14
	ds_bpermute_b32 v17, v7, v5
	ds_bpermute_b32 v19, v7, v12
	;; [unrolled: 1-line block ×5, first 2 shown]
	s_wait_dscnt 0x6
	v_add_f32_e32 v13, v4, v15
	v_cmp_eq_u32_e64 s2, 0, v20
	s_wait_dscnt 0x5
	v_add_f32_e32 v11, v2, v11
	ds_bpermute_b32 v15, v7, v8
	ds_bpermute_b32 v20, v7, v13
	s_wait_alu 0xf1ff
	v_cndmask_b32_e64 v2, -v3, v3, s2
	ds_bpermute_b32 v21, v7, v11
	v_cndmask_b32_e64 v3, -v5, v5, s2
	v_cndmask_b32_e64 v5, -v6, v6, s2
	;; [unrolled: 1-line block ×3, first 2 shown]
	v_xor_b32_e32 v12, 16, v10
	v_cndmask_b32_e64 v8, -v8, v8, s2
	s_wait_dscnt 0x6
	s_delay_alu instid0(VALU_DEP_3) | instskip(NEXT) | instid1(VALU_DEP_3)
	v_dual_add_f32 v4, v3, v17 :: v_dual_add_f32 v7, v6, v19
	v_cmp_gt_i32_e64 s3, 32, v12
	v_cndmask_b32_e64 v6, -v9, v9, s2
	v_cndmask_b32_e64 v9, -v13, v13, s2
	s_wait_dscnt 0x4
	v_dual_add_f32 v2, v2, v16 :: v_dual_add_f32 v5, v5, v18
	s_wait_alu 0xf1ff
	v_cndmask_b32_e64 v3, v10, v12, s3
	v_cndmask_b32_e64 v10, -v11, v11, s2
	s_wait_dscnt 0x3
	v_add_f32_e32 v12, v6, v14
	s_wait_dscnt 0x1
	v_dual_add_f32 v14, v8, v15 :: v_dual_add_f32 v15, v9, v20
	s_wait_dscnt 0x0
	v_dual_add_f32 v16, v10, v21 :: v_dual_lshlrev_b32 v17, 2, v3
	ds_bpermute_b32 v3, v17, v2
	ds_bpermute_b32 v6, v17, v4
	;; [unrolled: 1-line block ×8, first 2 shown]
	s_and_saveexec_b32 s2, vcc_lo
	s_cbranch_execz .LBB31_4
; %bb.3:
	v_and_b32_e32 v0, 16, v0
	s_clause 0x1
	s_load_b96 s[4:6], s[0:1], 0x18
	s_load_b64 s[0:1], s[0:1], 0x30
	s_delay_alu instid0(VALU_DEP_1)
	v_cmp_eq_u32_e32 vcc_lo, 0, v0
	v_cndmask_b32_e64 v0, -v16, v16, vcc_lo
	v_cndmask_b32_e64 v15, -v15, v15, vcc_lo
	;; [unrolled: 1-line block ×5, first 2 shown]
	s_wait_dscnt 0x0
	v_add_f32_e32 v0, v0, v17
	v_cndmask_b32_e64 v4, -v4, v4, vcc_lo
	v_cndmask_b32_e64 v2, -v2, v2, vcc_lo
	v_add_f32_e32 v13, v15, v13
	v_add_f32_e32 v11, v14, v11
	v_cndmask_b32_e64 v7, -v7, v7, vcc_lo
	s_wait_kmcnt 0x0
	v_mul_f32_e32 v0, s6, v0
	v_dual_add_f32 v10, v12, v10 :: v_dual_add_f32 v5, v5, v8
	v_add_f32_e32 v4, v4, v6
	v_mul_f32_e32 v6, s6, v13
	v_add_f32_e32 v2, v2, v3
	v_mul_f32_e32 v3, s6, v11
	v_bfe_u32 v8, v0, 16, 1
	v_add_f32_e32 v7, v7, v9
	v_mul_f32_e32 v9, s6, v10
	v_bfe_u32 v10, v6, 16, 1
	v_or_b32_e32 v11, 0x400000, v0
	v_add3_u32 v8, v8, v0, 0x7fff
	v_cmp_u_f32_e32 vcc_lo, v0, v0
	v_or_b32_e32 v12, 0x400000, v6
	v_bfe_u32 v13, v3, 16, 1
	v_add3_u32 v10, v10, v6, 0x7fff
	v_bfe_u32 v14, v9, 16, 1
	s_wait_alu 0xfffd
	v_cndmask_b32_e32 v0, v8, v11, vcc_lo
	v_cmp_u_f32_e32 vcc_lo, v6, v6
	v_add3_u32 v8, v13, v3, 0x7fff
	v_mul_f32_e32 v7, s6, v7
	v_add3_u32 v11, v14, v9, 0x7fff
	v_dual_mul_f32 v5, s6, v5 :: v_dual_mul_f32 v4, s6, v4
	s_wait_alu 0xfffd
	v_cndmask_b32_e32 v6, v10, v12, vcc_lo
	v_or_b32_e32 v10, 0x400000, v3
	v_cmp_u_f32_e32 vcc_lo, v3, v3
	v_or_b32_e32 v12, 0x400000, v9
	v_or_b32_e32 v13, 0x400000, v4
	s_mul_u64 s[2:3], s[4:5], s[8:9]
	s_wait_alu 0xfffd
	v_cndmask_b32_e32 v3, v8, v10, vcc_lo
	v_bfe_u32 v8, v7, 16, 1
	v_cmp_u_f32_e32 vcc_lo, v9, v9
	v_or_b32_e32 v10, 0x400000, v7
	s_wait_alu 0xfffe
	s_lshl_b64 s[2:3], s[2:3], 1
	v_add3_u32 v8, v8, v7, 0x7fff
	s_wait_alu 0xfffd
	v_cndmask_b32_e32 v9, v11, v12, vcc_lo
	v_bfe_u32 v11, v5, 16, 1
	v_cmp_u_f32_e32 vcc_lo, v7, v7
	v_bfe_u32 v12, v4, 16, 1
	s_wait_alu 0xfffe
	s_add_nc_u64 s[0:1], s[0:1], s[2:3]
	s_wait_alu 0xfffd
	v_cndmask_b32_e32 v7, v8, v10, vcc_lo
	v_add3_u32 v10, v11, v5, 0x7fff
	v_or_b32_e32 v11, 0x400000, v5
	v_cmp_u_f32_e32 vcc_lo, v5, v5
	v_add3_u32 v12, v12, v4, 0x7fff
	v_perm_b32 v5, v0, v6, 0x7060302
	s_wait_alu 0xfffd
	v_cndmask_b32_e32 v10, v10, v11, vcc_lo
	v_cmp_u_f32_e32 vcc_lo, v4, v4
	v_mul_f32_e32 v2, s6, v2
	v_perm_b32 v4, v3, v9, 0x7060302
	s_delay_alu instid0(VALU_DEP_4)
	v_perm_b32 v3, v7, v10, 0x7060302
	s_wait_alu 0xfffd
	v_cndmask_b32_e32 v11, v12, v13, vcc_lo
	v_bfe_u32 v8, v2, 16, 1
	v_or_b32_e32 v14, 0x400000, v2
	v_cmp_u_f32_e32 vcc_lo, v2, v2
	s_delay_alu instid0(VALU_DEP_3) | instskip(SKIP_1) | instid1(VALU_DEP_1)
	v_add3_u32 v8, v8, v2, 0x7fff
	s_wait_alu 0xfffd
	v_cndmask_b32_e32 v2, v8, v14, vcc_lo
	s_delay_alu instid0(VALU_DEP_1)
	v_perm_b32 v2, v11, v2, 0x7060302
	global_store_b128 v1, v[2:5], s[0:1]
.LBB31_4:
	s_endpgm
	.section	.rodata,"a",@progbits
	.p2align	6, 0x0
	.amdhsa_kernel _Z30fast_hadamard_transform_kernelI37fast_hadamard_transform_kernel_traitsILi32ELi8E14__hip_bfloat16EEv18HadamardParamsBase
		.amdhsa_group_segment_fixed_size 0
		.amdhsa_private_segment_fixed_size 0
		.amdhsa_kernarg_size 56
		.amdhsa_user_sgpr_count 2
		.amdhsa_user_sgpr_dispatch_ptr 0
		.amdhsa_user_sgpr_queue_ptr 0
		.amdhsa_user_sgpr_kernarg_segment_ptr 1
		.amdhsa_user_sgpr_dispatch_id 0
		.amdhsa_user_sgpr_private_segment_size 0
		.amdhsa_wavefront_size32 1
		.amdhsa_uses_dynamic_stack 0
		.amdhsa_enable_private_segment 0
		.amdhsa_system_sgpr_workgroup_id_x 1
		.amdhsa_system_sgpr_workgroup_id_y 0
		.amdhsa_system_sgpr_workgroup_id_z 0
		.amdhsa_system_sgpr_workgroup_info 0
		.amdhsa_system_vgpr_workitem_id 0
		.amdhsa_next_free_vgpr 22
		.amdhsa_next_free_sgpr 10
		.amdhsa_reserve_vcc 1
		.amdhsa_float_round_mode_32 0
		.amdhsa_float_round_mode_16_64 0
		.amdhsa_float_denorm_mode_32 3
		.amdhsa_float_denorm_mode_16_64 3
		.amdhsa_fp16_overflow 0
		.amdhsa_workgroup_processor_mode 1
		.amdhsa_memory_ordered 1
		.amdhsa_forward_progress 1
		.amdhsa_inst_pref_size 15
		.amdhsa_round_robin_scheduling 0
		.amdhsa_exception_fp_ieee_invalid_op 0
		.amdhsa_exception_fp_denorm_src 0
		.amdhsa_exception_fp_ieee_div_zero 0
		.amdhsa_exception_fp_ieee_overflow 0
		.amdhsa_exception_fp_ieee_underflow 0
		.amdhsa_exception_fp_ieee_inexact 0
		.amdhsa_exception_int_div_zero 0
	.end_amdhsa_kernel
	.section	.text._Z30fast_hadamard_transform_kernelI37fast_hadamard_transform_kernel_traitsILi32ELi8E14__hip_bfloat16EEv18HadamardParamsBase,"axG",@progbits,_Z30fast_hadamard_transform_kernelI37fast_hadamard_transform_kernel_traitsILi32ELi8E14__hip_bfloat16EEv18HadamardParamsBase,comdat
.Lfunc_end31:
	.size	_Z30fast_hadamard_transform_kernelI37fast_hadamard_transform_kernel_traitsILi32ELi8E14__hip_bfloat16EEv18HadamardParamsBase, .Lfunc_end31-_Z30fast_hadamard_transform_kernelI37fast_hadamard_transform_kernel_traitsILi32ELi8E14__hip_bfloat16EEv18HadamardParamsBase
                                        ; -- End function
	.set _Z30fast_hadamard_transform_kernelI37fast_hadamard_transform_kernel_traitsILi32ELi8E14__hip_bfloat16EEv18HadamardParamsBase.num_vgpr, 22
	.set _Z30fast_hadamard_transform_kernelI37fast_hadamard_transform_kernel_traitsILi32ELi8E14__hip_bfloat16EEv18HadamardParamsBase.num_agpr, 0
	.set _Z30fast_hadamard_transform_kernelI37fast_hadamard_transform_kernel_traitsILi32ELi8E14__hip_bfloat16EEv18HadamardParamsBase.numbered_sgpr, 10
	.set _Z30fast_hadamard_transform_kernelI37fast_hadamard_transform_kernel_traitsILi32ELi8E14__hip_bfloat16EEv18HadamardParamsBase.num_named_barrier, 0
	.set _Z30fast_hadamard_transform_kernelI37fast_hadamard_transform_kernel_traitsILi32ELi8E14__hip_bfloat16EEv18HadamardParamsBase.private_seg_size, 0
	.set _Z30fast_hadamard_transform_kernelI37fast_hadamard_transform_kernel_traitsILi32ELi8E14__hip_bfloat16EEv18HadamardParamsBase.uses_vcc, 1
	.set _Z30fast_hadamard_transform_kernelI37fast_hadamard_transform_kernel_traitsILi32ELi8E14__hip_bfloat16EEv18HadamardParamsBase.uses_flat_scratch, 0
	.set _Z30fast_hadamard_transform_kernelI37fast_hadamard_transform_kernel_traitsILi32ELi8E14__hip_bfloat16EEv18HadamardParamsBase.has_dyn_sized_stack, 0
	.set _Z30fast_hadamard_transform_kernelI37fast_hadamard_transform_kernel_traitsILi32ELi8E14__hip_bfloat16EEv18HadamardParamsBase.has_recursion, 0
	.set _Z30fast_hadamard_transform_kernelI37fast_hadamard_transform_kernel_traitsILi32ELi8E14__hip_bfloat16EEv18HadamardParamsBase.has_indirect_call, 0
	.section	.AMDGPU.csdata,"",@progbits
; Kernel info:
; codeLenInByte = 1916
; TotalNumSgprs: 12
; NumVgprs: 22
; ScratchSize: 0
; MemoryBound: 0
; FloatMode: 240
; IeeeMode: 1
; LDSByteSize: 0 bytes/workgroup (compile time only)
; SGPRBlocks: 0
; VGPRBlocks: 2
; NumSGPRsForWavesPerEU: 12
; NumVGPRsForWavesPerEU: 22
; Occupancy: 16
; WaveLimiterHint : 0
; COMPUTE_PGM_RSRC2:SCRATCH_EN: 0
; COMPUTE_PGM_RSRC2:USER_SGPR: 2
; COMPUTE_PGM_RSRC2:TRAP_HANDLER: 0
; COMPUTE_PGM_RSRC2:TGID_X_EN: 1
; COMPUTE_PGM_RSRC2:TGID_Y_EN: 0
; COMPUTE_PGM_RSRC2:TGID_Z_EN: 0
; COMPUTE_PGM_RSRC2:TIDIG_COMP_CNT: 0
	.section	.text._Z30fast_hadamard_transform_kernelI37fast_hadamard_transform_kernel_traitsILi32ELi9E14__hip_bfloat16EEv18HadamardParamsBase,"axG",@progbits,_Z30fast_hadamard_transform_kernelI37fast_hadamard_transform_kernel_traitsILi32ELi9E14__hip_bfloat16EEv18HadamardParamsBase,comdat
	.protected	_Z30fast_hadamard_transform_kernelI37fast_hadamard_transform_kernel_traitsILi32ELi9E14__hip_bfloat16EEv18HadamardParamsBase ; -- Begin function _Z30fast_hadamard_transform_kernelI37fast_hadamard_transform_kernel_traitsILi32ELi9E14__hip_bfloat16EEv18HadamardParamsBase
	.globl	_Z30fast_hadamard_transform_kernelI37fast_hadamard_transform_kernel_traitsILi32ELi9E14__hip_bfloat16EEv18HadamardParamsBase
	.p2align	8
	.type	_Z30fast_hadamard_transform_kernelI37fast_hadamard_transform_kernel_traitsILi32ELi9E14__hip_bfloat16EEv18HadamardParamsBase,@function
_Z30fast_hadamard_transform_kernelI37fast_hadamard_transform_kernel_traitsILi32ELi9E14__hip_bfloat16EEv18HadamardParamsBase: ; @_Z30fast_hadamard_transform_kernelI37fast_hadamard_transform_kernel_traitsILi32ELi9E14__hip_bfloat16EEv18HadamardParamsBase
; %bb.0:
	s_clause 0x3
	s_load_b128 s[8:11], s[0:1], 0x10
	s_load_b32 s3, s[0:1], 0x4
	s_load_b128 s[4:7], s[0:1], 0x28
	s_load_b32 s14, s[0:1], 0x44
	v_dual_mov_b32 v10, 0 :: v_dual_lshlrev_b32 v1, 3, v0
	s_mov_b32 s12, ttmp9
	s_ashr_i32 s13, ttmp9, 31
	v_dual_mov_b32 v3, 0 :: v_dual_mov_b32 v4, 0
	v_dual_mov_b32 v5, 0 :: v_dual_mov_b32 v6, 0
	;; [unrolled: 1-line block ×3, first 2 shown]
	v_dual_mov_b32 v9, 0 :: v_dual_lshlrev_b32 v2, 4, v0
	v_mov_b32_e32 v11, 0
	s_wait_kmcnt 0x0
	s_mul_u64 s[8:9], s[8:9], s[12:13]
	v_cmp_gt_u32_e64 s2, s3, v1
	s_lshl_b64 s[8:9], s[8:9], 1
	s_delay_alu instid0(SALU_CYCLE_1)
	s_add_nc_u64 s[4:5], s[4:5], s[8:9]
	s_and_saveexec_b32 s8, s2
	s_cbranch_execz .LBB32_2
; %bb.1:
	global_load_b128 v[12:15], v2, s[4:5]
	s_wait_loadcnt 0x0
	v_lshlrev_b32_e32 v11, 16, v12
	v_and_b32_e32 v10, 0xffff0000, v12
	v_lshlrev_b32_e32 v9, 16, v13
	v_and_b32_e32 v8, 0xffff0000, v13
	;; [unrolled: 2-line block ×4, first 2 shown]
.LBB32_2:
	s_or_b32 exec_lo, exec_lo, s8
	s_and_b32 s8, 0xffff, s14
	v_dual_mov_b32 v13, 0 :: v_dual_mov_b32 v14, 0
	v_dual_mov_b32 v12, 0 :: v_dual_add_nc_u32 v1, s8, v0
	v_dual_mov_b32 v16, 0 :: v_dual_mov_b32 v17, 0
	s_delay_alu instid0(VALU_DEP_2) | instskip(SKIP_1) | instid1(VALU_DEP_2)
	v_dual_mov_b32 v15, 0 :: v_dual_lshlrev_b32 v18, 3, v1
	v_lshlrev_b32_e32 v1, 4, v1
	v_cmp_gt_u32_e32 vcc_lo, s3, v18
	v_mov_b32_e32 v18, 0
	s_and_saveexec_b32 s3, vcc_lo
	s_cbranch_execz .LBB32_4
; %bb.3:
	global_load_b128 v[19:22], v1, s[4:5]
	s_wait_loadcnt 0x0
	v_lshlrev_b32_e32 v18, 16, v19
	v_and_b32_e32 v17, 0xffff0000, v19
	v_lshlrev_b32_e32 v16, 16, v20
	v_and_b32_e32 v15, 0xffff0000, v20
	;; [unrolled: 2-line block ×4, first 2 shown]
.LBB32_4:
	s_wait_alu 0xfffe
	s_or_b32 exec_lo, exec_lo, s3
	v_dual_add_f32 v19, v10, v11 :: v_dual_sub_f32 v10, v11, v10
	v_add_f32_e32 v11, v17, v18
	v_sub_f32_e32 v17, v18, v17
	v_add_f32_e32 v18, v8, v9
	v_sub_f32_e32 v8, v9, v8
	;; [unrolled: 2-line block ×7, first 2 shown]
	v_add_f32_e32 v12, v18, v19
	v_dual_sub_f32 v18, v19, v18 :: v_dual_add_f32 v19, v9, v11
	v_dual_add_f32 v20, v8, v10 :: v_dual_sub_f32 v9, v11, v9
	v_sub_f32_e32 v8, v10, v8
	v_mbcnt_lo_u32_b32 v11, -1, 0
	v_dual_add_f32 v10, v15, v17 :: v_dual_sub_f32 v15, v17, v15
	s_load_b32 s14, s[0:1], 0x20
	v_dual_add_f32 v21, v14, v16 :: v_dual_sub_f32 v14, v16, v14
	s_delay_alu instid0(VALU_DEP_3) | instskip(SKIP_1) | instid1(VALU_DEP_3)
	v_xor_b32_e32 v17, 1, v11
	v_dual_add_f32 v16, v5, v7 :: v_dual_sub_f32 v5, v7, v5
	v_add_f32_e32 v22, v21, v12
	v_sub_f32_e32 v12, v12, v21
	s_delay_alu instid0(VALU_DEP_4)
	v_cmp_gt_i32_e64 s0, 32, v17
	s_mul_u64 s[8:9], s[10:11], s[12:13]
	v_and_b32_e32 v37, 8, v0
	v_and_b32_e32 v33, 4, v0
	v_cndmask_b32_e64 v7, v11, v17, s0
	v_dual_add_f32 v17, v4, v6 :: v_dual_sub_f32 v4, v6, v4
	v_dual_add_f32 v6, v3, v13 :: v_dual_sub_f32 v3, v13, v3
	s_delay_alu instid0(VALU_DEP_3) | instskip(SKIP_1) | instid1(VALU_DEP_4)
	v_lshlrev_b32_e32 v7, 2, v7
	v_dual_add_f32 v13, v16, v19 :: v_dual_sub_f32 v16, v19, v16
	v_add_f32_e32 v21, v17, v20
	v_sub_f32_e32 v17, v20, v17
	ds_bpermute_b32 v19, v7, v22
	v_add_f32_e32 v20, v6, v10
	v_dual_sub_f32 v6, v10, v6 :: v_dual_add_f32 v23, v4, v8
	v_add_f32_e32 v10, v14, v18
	v_sub_f32_e32 v14, v18, v14
	v_and_b32_e32 v18, 1, v0
	ds_bpermute_b32 v24, v7, v21
	ds_bpermute_b32 v26, v7, v23
	;; [unrolled: 1-line block ×4, first 2 shown]
	v_cmp_eq_u32_e64 s0, 0, v18
	v_cmp_eq_u32_e64 s3, 0, v33
	v_xor_b32_e32 v33, 8, v11
	s_wait_alu 0xf1ff
	s_delay_alu instid0(VALU_DEP_3)
	v_cndmask_b32_e64 v18, -v22, v22, s0
	v_add_f32_e32 v28, v5, v9
	v_sub_f32_e32 v5, v9, v5
	ds_bpermute_b32 v25, v7, v10
	v_cndmask_b32_e64 v10, -v10, v10, s0
	s_wait_dscnt 0x5
	v_add_f32_e32 v9, v18, v19
	v_cndmask_b32_e64 v18, -v23, v23, s0
	ds_bpermute_b32 v23, v7, v13
	v_cndmask_b32_e64 v13, -v13, v13, s0
	v_sub_f32_e32 v4, v8, v4
	ds_bpermute_b32 v19, v7, v17
	v_cndmask_b32_e64 v17, -v17, v17, s0
	v_cndmask_b32_e64 v12, -v12, v12, s0
	;; [unrolled: 1-line block ×3, first 2 shown]
	v_cmp_gt_i32_e64 s4, 32, v33
	s_wait_dscnt 0x2
	v_add_f32_e32 v10, v10, v25
	v_xor_b32_e32 v25, 2, v11
	s_wait_dscnt 0x1
	v_add_f32_e32 v13, v13, v23
	ds_bpermute_b32 v22, v7, v4
	v_cndmask_b32_e64 v4, -v4, v4, s0
	v_add_f32_e32 v8, v3, v15
	v_sub_f32_e32 v3, v15, v3
	v_cndmask_b32_e64 v15, -v21, v21, s0
	v_cmp_gt_i32_e64 s1, 32, v25
	ds_bpermute_b32 v21, v7, v14
	s_wait_dscnt 0x2
	v_add_f32_e32 v17, v17, v19
	v_cndmask_b32_e64 v14, -v14, v14, s0
	v_add_f32_e32 v15, v15, v24
	ds_bpermute_b32 v24, v7, v20
	v_cndmask_b32_e64 v20, -v20, v20, s0
	s_wait_alu 0xf1ff
	v_cndmask_b32_e64 v25, v11, v25, s1
	s_wait_dscnt 0x2
	v_add_f32_e32 v19, v4, v22
	v_cndmask_b32_e64 v22, -v28, v28, s0
	s_delay_alu instid0(VALU_DEP_3)
	v_lshlrev_b32_e32 v4, 2, v25
	ds_bpermute_b32 v25, v7, v5
	v_cndmask_b32_e64 v5, -v5, v5, s0
	v_add_f32_e32 v12, v12, v27
	ds_bpermute_b32 v27, v7, v8
	ds_bpermute_b32 v23, v4, v9
	v_cndmask_b32_e64 v8, -v8, v8, s0
	s_wait_dscnt 0x3
	v_add_f32_e32 v20, v20, v24
	v_xor_b32_e32 v24, 4, v11
	s_delay_alu instid0(VALU_DEP_1) | instskip(SKIP_1) | instid1(VALU_DEP_1)
	v_cmp_gt_i32_e64 s1, 32, v24
	s_wait_alu 0xf1ff
	v_cndmask_b32_e64 v24, v11, v24, s1
	v_add_f32_e32 v18, v18, v26
	ds_bpermute_b32 v26, v7, v28
	s_wait_dscnt 0x2
	v_add_f32_e32 v8, v8, v27
	s_wait_dscnt 0x0
	v_add_f32_e32 v22, v22, v26
	v_and_b32_e32 v26, 2, v0
	s_delay_alu instid0(VALU_DEP_1) | instskip(SKIP_1) | instid1(VALU_DEP_1)
	v_cmp_eq_u32_e64 s1, 0, v26
	s_wait_alu 0xf1ff
	v_cndmask_b32_e64 v9, -v9, v9, s1
	v_add_f32_e32 v14, v14, v21
	ds_bpermute_b32 v21, v7, v6
	ds_bpermute_b32 v7, v7, v3
	v_cndmask_b32_e64 v6, -v6, v6, s0
	v_cndmask_b32_e64 v3, -v3, v3, s0
	v_add_f32_e32 v9, v9, v23
	v_add_f32_e32 v23, v5, v25
	v_cmp_eq_u32_e64 s0, 0, v37
	s_wait_dscnt 0x0
	v_add_f32_e32 v7, v3, v7
	ds_bpermute_b32 v5, v4, v10
	ds_bpermute_b32 v30, v4, v13
	v_cndmask_b32_e64 v13, -v13, v13, s1
	v_dual_add_f32 v6, v6, v21 :: v_dual_lshlrev_b32 v21, 2, v24
	ds_bpermute_b32 v3, v4, v15
	v_cndmask_b32_e64 v10, -v10, v10, s1
	ds_bpermute_b32 v25, v4, v18
	v_cndmask_b32_e64 v15, -v15, v15, s1
	;; [unrolled: 2-line block ×3, first 2 shown]
	v_add_f32_e32 v16, v16, v29
	ds_bpermute_b32 v34, v4, v8
	v_cndmask_b32_e64 v18, -v18, v18, s1
	v_cndmask_b32_e64 v8, -v8, v8, s1
	ds_bpermute_b32 v32, v4, v22
	v_cndmask_b32_e64 v22, -v22, v22, s1
	ds_bpermute_b32 v26, v4, v12
	ds_bpermute_b32 v27, v4, v17
	;; [unrolled: 1-line block ×3, first 2 shown]
	s_wait_dscnt 0x9
	v_add_f32_e32 v5, v10, v5
	v_cndmask_b32_e64 v10, v11, v33, s4
	ds_bpermute_b32 v31, v4, v20
	s_wait_dscnt 0x9
	v_add_f32_e32 v13, v13, v30
	v_cndmask_b32_e64 v20, -v20, v20, s1
	s_wait_dscnt 0x8
	v_add_f32_e32 v3, v15, v3
	ds_bpermute_b32 v29, v4, v19
	ds_bpermute_b32 v36, v4, v6
	ds_bpermute_b32 v33, v21, v13
	s_wait_dscnt 0x9
	v_add_f32_e32 v9, v9, v24
	ds_bpermute_b32 v24, v21, v5
	v_cndmask_b32_e64 v5, -v5, v5, s3
	v_add_f32_e32 v18, v18, v25
	ds_bpermute_b32 v25, v21, v3
	v_cndmask_b32_e64 v3, -v3, v3, s3
	s_wait_dscnt 0xa
	v_add_f32_e32 v8, v8, v34
	v_cndmask_b32_e64 v13, -v13, v13, s3
	ds_bpermute_b32 v35, v4, v16
	ds_bpermute_b32 v38, v4, v7
	v_cndmask_b32_e64 v14, -v14, v14, s1
	v_cndmask_b32_e64 v17, -v17, v17, s1
	;; [unrolled: 1-line block ×3, first 2 shown]
	s_wait_dscnt 0x7
	v_add_f32_e32 v20, v20, v31
	v_cndmask_b32_e64 v7, -v7, v7, s1
	v_add_f32_e32 v14, v14, v28
	v_cndmask_b32_e64 v16, -v16, v16, s1
	v_cndmask_b32_e64 v6, -v6, v6, s1
	v_add_f32_e32 v17, v17, v27
	s_wait_dscnt 0x4
	v_add_f32_e32 v13, v13, v33
	s_wait_dscnt 0x3
	v_add_f32_e32 v5, v5, v24
	ds_bpermute_b32 v15, v21, v18
	v_cndmask_b32_e64 v18, -v18, v18, s3
	s_wait_dscnt 0x3
	v_dual_add_f32 v3, v3, v25 :: v_dual_lshlrev_b32 v10, 2, v10
	ds_bpermute_b32 v30, v21, v8
	v_cndmask_b32_e64 v8, -v8, v8, s3
	s_wait_dscnt 0x2
	v_add_f32_e32 v7, v7, v38
	s_wait_dscnt 0x1
	v_add_f32_e32 v15, v18, v15
	v_xor_b32_e32 v18, 16, v11
	ds_bpermute_b32 v37, v10, v3
	ds_bpermute_b32 v24, v10, v9
	s_wait_alu 0xf1ff
	v_cndmask_b32_e64 v3, -v3, v3, s0
	ds_bpermute_b32 v25, v10, v15
	v_cmp_gt_i32_e64 s4, 32, v18
	s_wait_dscnt 0x3
	v_add_f32_e32 v8, v8, v30
	ds_bpermute_b32 v34, v10, v5
	v_cndmask_b32_e64 v9, -v9, v9, s0
	v_cndmask_b32_e64 v15, -v15, v15, s0
	s_wait_alu 0xf1ff
	v_cndmask_b32_e64 v11, v11, v18, s4
	v_add_f32_e32 v22, v22, v32
	ds_bpermute_b32 v32, v21, v20
	v_and_b32_e32 v0, 16, v0
	v_cndmask_b32_e64 v20, -v20, v20, s3
	v_lshlrev_b32_e32 v11, 2, v11
	ds_bpermute_b32 v31, v21, v22
	v_cndmask_b32_e64 v18, -v22, v22, s3
	v_cndmask_b32_e64 v5, -v5, v5, s0
	s_wait_dscnt 0x5
	v_add_f32_e32 v3, v3, v37
	ds_bpermute_b32 v22, v10, v8
	ds_bpermute_b32 v37, v4, v23
	s_wait_dscnt 0x5
	v_add_f32_e32 v15, v15, v25
	v_cmp_eq_u32_e64 s4, 0, v0
	v_cndmask_b32_e64 v0, -v8, v8, s0
	v_add_f32_e32 v9, v9, v24
	s_wait_dscnt 0x4
	v_add_f32_e32 v5, v5, v34
	ds_bpermute_b32 v25, v10, v13
	v_cndmask_b32_e64 v8, -v13, v13, s0
	v_cndmask_b32_e64 v23, -v23, v23, s1
	v_add_f32_e32 v12, v12, v26
	ds_bpermute_b32 v26, v21, v17
	v_cndmask_b32_e64 v17, -v17, v17, s3
	v_add_f32_e32 v6, v6, v36
	s_wait_dscnt 0x4
	v_add_f32_e32 v18, v18, v31
	ds_bpermute_b32 v31, v11, v15
	ds_bpermute_b32 v33, v11, v3
	;; [unrolled: 1-line block ×3, first 2 shown]
	v_cndmask_b32_e64 v4, -v18, v18, s0
	s_wait_dscnt 0x6
	v_add_f32_e32 v18, v0, v22
	ds_bpermute_b32 v34, v11, v9
	s_wait_alu 0xf1ff
	v_cndmask_b32_e64 v9, -v9, v9, s4
	v_add_f32_e32 v20, v20, v32
	v_cndmask_b32_e64 v0, -v15, v15, s4
	v_cndmask_b32_e64 v15, -v19, v19, s1
	s_wait_dscnt 0x5
	v_add_f32_e32 v8, v8, v25
	ds_bpermute_b32 v25, v21, v14
	ds_bpermute_b32 v24, v10, v20
	v_cndmask_b32_e64 v13, -v20, v20, s0
	v_add_f32_e32 v15, v15, v29
	v_add_f32_e32 v23, v23, v37
	v_cndmask_b32_e64 v14, -v14, v14, s3
	ds_bpermute_b32 v27, v21, v12
	s_wait_dscnt 0x6
	v_add_f32_e32 v0, v0, v31
	ds_bpermute_b32 v29, v21, v7
	v_add_f32_e32 v17, v17, v26
	ds_bpermute_b32 v31, v21, v6
	s_wait_dscnt 0x6
	v_add_f32_e32 v20, v4, v30
	ds_bpermute_b32 v30, v21, v23
	v_cndmask_b32_e64 v23, -v23, v23, s3
	ds_bpermute_b32 v26, v10, v17
	v_cndmask_b32_e64 v12, -v12, v12, s3
	v_cndmask_b32_e64 v7, -v7, v7, s3
	;; [unrolled: 1-line block ×4, first 2 shown]
	ds_bpermute_b32 v32, v11, v5
	s_wait_dscnt 0x6
	v_dual_add_f32 v14, v14, v25 :: v_dual_add_f32 v13, v13, v24
	ds_bpermute_b32 v24, v21, v15
	v_cndmask_b32_e64 v15, -v15, v15, s3
	v_add_f32_e32 v16, v16, v35
	ds_bpermute_b32 v19, v11, v20
	s_wait_dscnt 0x7
	v_add_f32_e32 v12, v12, v27
	v_cndmask_b32_e64 v4, -v5, v5, s4
	s_wait_dscnt 0x6
	v_add_f32_e32 v7, v7, v29
	v_cndmask_b32_e64 v5, -v3, v3, s4
	s_wait_dscnt 0x5
	v_add_f32_e32 v6, v6, v31
	ds_bpermute_b32 v27, v10, v12
	s_wait_dscnt 0x5
	v_add_f32_e32 v23, v23, v30
	ds_bpermute_b32 v25, v10, v14
	v_cndmask_b32_e64 v14, -v14, v14, s0
	s_wait_dscnt 0x5
	v_add_f32_e32 v17, v17, v26
	v_cndmask_b32_e64 v12, -v12, v12, s0
	ds_bpermute_b32 v29, v10, v23
	ds_bpermute_b32 v30, v10, v6
	v_cndmask_b32_e64 v6, -v6, v6, s0
	s_wait_dscnt 0x6
	v_dual_add_f32 v3, v4, v32 :: v_dual_add_f32 v4, v5, v33
	s_wait_dscnt 0x5
	v_add_f32_e32 v15, v15, v24
	ds_bpermute_b32 v21, v21, v16
	v_cndmask_b32_e64 v16, -v16, v16, s3
	v_add_f32_e32 v5, v9, v34
	ds_bpermute_b32 v9, v11, v8
	ds_bpermute_b32 v24, v10, v15
	v_cndmask_b32_e64 v15, -v15, v15, s0
	ds_bpermute_b32 v22, v11, v13
	ds_bpermute_b32 v28, v11, v18
	v_cndmask_b32_e64 v20, -v20, v20, s4
	v_cndmask_b32_e64 v8, -v8, v8, s4
	s_wait_dscnt 0x7
	v_add_f32_e32 v25, v14, v25
	v_cndmask_b32_e64 v13, -v13, v13, s4
	v_cndmask_b32_e64 v18, -v18, v18, s4
	ds_bpermute_b32 v26, v11, v25
	s_wait_dscnt 0x6
	v_add_f32_e32 v30, v6, v30
	s_wait_dscnt 0x5
	v_add_f32_e32 v16, v16, v21
	ds_bpermute_b32 v21, v10, v7
	v_cndmask_b32_e64 v7, -v7, v7, s0
	v_add_f32_e32 v12, v12, v27
	s_wait_dscnt 0x4
	v_add_f32_e32 v24, v15, v24
	v_cndmask_b32_e64 v15, -v23, v23, s0
	ds_bpermute_b32 v27, v11, v17
	ds_bpermute_b32 v34, v11, v30
	;; [unrolled: 1-line block ×3, first 2 shown]
	v_add_f32_e32 v29, v15, v29
	v_add_f32_e32 v15, v20, v19
	v_cndmask_b32_e64 v6, -v24, v24, s4
	ds_bpermute_b32 v33, v11, v29
	s_wait_dscnt 0x4
	v_add_f32_e32 v21, v7, v21
	v_cndmask_b32_e64 v7, -v25, v25, s4
	ds_bpermute_b32 v31, v11, v12
	ds_bpermute_b32 v32, v11, v21
	v_add_f32_e32 v7, v7, v26
	ds_bpermute_b32 v10, v10, v16
	v_cndmask_b32_e64 v14, -v16, v16, s0
	s_wait_dscnt 0x4
	v_add_f32_e32 v6, v6, v23
	s_wait_alu 0xfffe
	s_lshl_b64 s[0:1], s[8:9], 1
	s_wait_dscnt 0x0
	v_add_f32_e32 v10, v14, v10
	v_add_f32_e32 v14, v18, v28
	v_cndmask_b32_e64 v18, -v30, v30, s4
	ds_bpermute_b32 v35, v11, v10
	v_cndmask_b32_e64 v11, -v17, v17, s4
	v_add_f32_e32 v17, v8, v9
	v_cndmask_b32_e64 v9, -v12, v12, s4
	v_cndmask_b32_e64 v19, -v10, v10, s4
	s_delay_alu instid0(VALU_DEP_4)
	v_add_f32_e32 v8, v11, v27
	v_cndmask_b32_e64 v11, -v21, v21, s4
	v_add_f32_e32 v16, v13, v22
	v_cndmask_b32_e64 v13, -v29, v29, s4
	v_add_f32_e32 v12, v9, v31
	s_wait_alu 0xfffe
	s_add_nc_u64 s[4:5], s[6:7], s[0:1]
	v_add_f32_e32 v9, v11, v32
	v_dual_add_f32 v11, v18, v34 :: v_dual_add_f32 v10, v13, v33
	s_wait_dscnt 0x0
	v_add_f32_e32 v13, v19, v35
	s_and_saveexec_b32 s1, s2
	s_cbranch_execnz .LBB32_7
; %bb.5:
	s_wait_alu 0xfffe
	s_or_b32 exec_lo, exec_lo, s1
	s_and_saveexec_b32 s0, vcc_lo
	s_cbranch_execnz .LBB32_8
.LBB32_6:
	s_endpgm
.LBB32_7:
	v_dual_add_f32 v18, v6, v9 :: v_dual_add_f32 v19, v7, v10
	s_delay_alu instid0(VALU_DEP_2) | instskip(SKIP_2) | instid1(VALU_DEP_3)
	v_add_f32_e32 v21, v12, v13
	v_dual_add_f32 v20, v8, v11 :: v_dual_add_f32 v25, v5, v17
	s_wait_kmcnt 0x0
	v_mul_f32_e32 v18, s14, v18
	v_dual_add_f32 v24, v4, v16 :: v_dual_mul_f32 v19, s14, v19
	s_delay_alu instid0(VALU_DEP_3) | instskip(NEXT) | instid1(VALU_DEP_3)
	v_dual_mul_f32 v20, s14, v20 :: v_dual_mul_f32 v21, s14, v21
	v_bfe_u32 v26, v18, 16, 1
	v_or_b32_e32 v28, 0x400000, v18
	s_delay_alu instid0(VALU_DEP_4)
	v_bfe_u32 v27, v19, 16, 1
	v_cmp_u_f32_e64 s0, v18, v18
	v_dual_add_f32 v22, v0, v14 :: v_dual_add_f32 v23, v3, v15
	v_add3_u32 v26, v26, v18, 0x7fff
	v_or_b32_e32 v29, 0x400000, v19
	v_bfe_u32 v30, v20, 16, 1
	v_add3_u32 v27, v27, v19, 0x7fff
	v_mul_f32_e32 v22, s14, v22
	s_wait_alu 0xf1ff
	v_cndmask_b32_e64 v18, v26, v28, s0
	v_cmp_u_f32_e64 s0, v19, v19
	v_bfe_u32 v26, v21, 16, 1
	v_or_b32_e32 v28, 0x400000, v20
	v_mul_f32_e32 v25, s14, v25
	s_wait_alu 0xf1ff
	v_cndmask_b32_e64 v19, v27, v29, s0
	v_add3_u32 v27, v30, v20, 0x7fff
	v_cmp_u_f32_e64 s0, v20, v20
	v_add3_u32 v26, v26, v21, 0x7fff
	v_or_b32_e32 v29, 0x400000, v21
	v_or_b32_e32 v31, 0x400000, v25
	s_wait_alu 0xf1ff
	v_cndmask_b32_e64 v20, v27, v28, s0
	v_cmp_u_f32_e64 s0, v21, v21
	v_mul_f32_e32 v21, s14, v23
	v_bfe_u32 v27, v22, 16, 1
	v_mul_f32_e32 v23, s14, v24
	s_wait_alu 0xf1ff
	v_cndmask_b32_e64 v26, v26, v29, s0
	v_bfe_u32 v28, v21, 16, 1
	v_add3_u32 v24, v27, v22, 0x7fff
	v_or_b32_e32 v27, 0x400000, v22
	v_cmp_u_f32_e64 s0, v22, v22
	v_bfe_u32 v29, v23, 16, 1
	v_or_b32_e32 v30, 0x400000, v23
	v_perm_b32 v20, v20, v26, 0x7060302
	s_wait_alu 0xf1ff
	v_cndmask_b32_e64 v22, v24, v27, s0
	v_add3_u32 v27, v28, v21, 0x7fff
	v_or_b32_e32 v28, 0x400000, v21
	v_cmp_u_f32_e64 s0, v21, v21
	v_bfe_u32 v24, v25, 16, 1
	v_add3_u32 v29, v29, v23, 0x7fff
	v_perm_b32 v21, v18, v19, 0x7060302
	s_wait_alu 0xf1ff
	v_cndmask_b32_e64 v27, v27, v28, s0
	v_cmp_u_f32_e64 s0, v23, v23
	v_add3_u32 v24, v24, v25, 0x7fff
	s_delay_alu instid0(VALU_DEP_3) | instskip(SKIP_1) | instid1(VALU_DEP_3)
	v_perm_b32 v19, v22, v27, 0x7060302
	s_wait_alu 0xf1ff
	v_cndmask_b32_e64 v23, v29, v30, s0
	v_cmp_u_f32_e64 s0, v25, v25
	s_wait_alu 0xf1ff
	s_delay_alu instid0(VALU_DEP_1) | instskip(NEXT) | instid1(VALU_DEP_1)
	v_cndmask_b32_e64 v24, v24, v31, s0
	v_perm_b32 v18, v23, v24, 0x7060302
	global_store_b128 v2, v[18:21], s[4:5]
	s_wait_alu 0xfffe
	s_or_b32 exec_lo, exec_lo, s1
	s_and_saveexec_b32 s0, vcc_lo
	s_cbranch_execz .LBB32_6
.LBB32_8:
	v_dual_sub_f32 v2, v5, v17 :: v_dual_sub_f32 v3, v3, v15
	v_sub_f32_e32 v4, v4, v16
	v_sub_f32_e32 v6, v6, v9
	s_wait_kmcnt 0x0
	s_delay_alu instid0(VALU_DEP_3) | instskip(NEXT) | instid1(VALU_DEP_3)
	v_dual_sub_f32 v5, v12, v13 :: v_dual_mul_f32 v2, s14, v2
	v_dual_mul_f32 v3, s14, v3 :: v_dual_mul_f32 v4, s14, v4
	s_delay_alu instid0(VALU_DEP_2) | instskip(NEXT) | instid1(VALU_DEP_3)
	v_dual_mul_f32 v6, s14, v6 :: v_dual_mul_f32 v5, s14, v5
	v_bfe_u32 v12, v2, 16, 1
	v_or_b32_e32 v13, 0x400000, v2
	s_delay_alu instid0(VALU_DEP_4)
	v_bfe_u32 v15, v3, 16, 1
	v_cmp_u_f32_e32 vcc_lo, v2, v2
	v_or_b32_e32 v17, 0x400000, v3
	v_add3_u32 v12, v12, v2, 0x7fff
	v_bfe_u32 v9, v5, 16, 1
	v_add3_u32 v15, v15, v3, 0x7fff
	v_or_b32_e32 v16, 0x400000, v4
	s_delay_alu instid0(VALU_DEP_4)
	v_dual_sub_f32 v7, v7, v10 :: v_dual_cndmask_b32 v2, v12, v13
	v_cmp_u_f32_e32 vcc_lo, v3, v3
	v_sub_f32_e32 v0, v0, v14
	v_add3_u32 v9, v9, v5, 0x7fff
	v_or_b32_e32 v10, 0x400000, v5
	v_bfe_u32 v14, v4, 16, 1
	s_wait_alu 0xfffd
	v_dual_cndmask_b32 v3, v15, v17 :: v_dual_mul_f32 v0, s14, v0
	v_mul_f32_e32 v7, s14, v7
	s_delay_alu instid0(VALU_DEP_3) | instskip(NEXT) | instid1(VALU_DEP_3)
	v_add3_u32 v14, v14, v4, 0x7fff
	v_bfe_u32 v18, v0, 16, 1
	v_or_b32_e32 v13, 0x400000, v0
	v_cmp_u_f32_e32 vcc_lo, v0, v0
	s_delay_alu instid0(VALU_DEP_3) | instskip(SKIP_1) | instid1(VALU_DEP_1)
	v_add3_u32 v12, v18, v0, 0x7fff
	s_wait_alu 0xfffd
	v_cndmask_b32_e32 v0, v12, v13, vcc_lo
	v_cmp_u_f32_e32 vcc_lo, v5, v5
	v_sub_f32_e32 v8, v8, v11
	v_bfe_u32 v12, v7, 16, 1
	v_bfe_u32 v13, v6, 16, 1
	s_wait_alu 0xfffd
	s_delay_alu instid0(VALU_DEP_3) | instskip(NEXT) | instid1(VALU_DEP_3)
	v_dual_cndmask_b32 v9, v9, v10 :: v_dual_mul_f32 v8, s14, v8
	v_add3_u32 v10, v12, v7, 0x7fff
	v_cmp_u_f32_e32 vcc_lo, v7, v7
	v_add3_u32 v12, v13, v6, 0x7fff
	v_or_b32_e32 v13, 0x400000, v6
	v_bfe_u32 v11, v8, 16, 1
	v_or_b32_e32 v15, 0x400000, v8
	s_delay_alu instid0(VALU_DEP_2) | instskip(SKIP_2) | instid1(VALU_DEP_1)
	v_add3_u32 v5, v11, v8, 0x7fff
	v_or_b32_e32 v11, 0x400000, v7
	s_wait_alu 0xfffd
	v_cndmask_b32_e32 v7, v10, v11, vcc_lo
	v_cmp_u_f32_e32 vcc_lo, v6, v6
	v_perm_b32 v3, v0, v3, 0x7060302
	s_wait_alu 0xfffd
	v_cndmask_b32_e32 v6, v12, v13, vcc_lo
	v_cmp_u_f32_e32 vcc_lo, v8, v8
	s_wait_alu 0xfffd
	v_cndmask_b32_e32 v8, v5, v15, vcc_lo
	v_cmp_u_f32_e32 vcc_lo, v4, v4
	v_perm_b32 v5, v6, v7, 0x7060302
	s_delay_alu instid0(VALU_DEP_3) | instskip(SKIP_2) | instid1(VALU_DEP_1)
	v_perm_b32 v4, v8, v9, 0x7060302
	s_wait_alu 0xfffd
	v_cndmask_b32_e32 v10, v14, v16, vcc_lo
	v_perm_b32 v2, v10, v2, 0x7060302
	global_store_b128 v1, v[2:5], s[4:5]
	s_endpgm
	.section	.rodata,"a",@progbits
	.p2align	6, 0x0
	.amdhsa_kernel _Z30fast_hadamard_transform_kernelI37fast_hadamard_transform_kernel_traitsILi32ELi9E14__hip_bfloat16EEv18HadamardParamsBase
		.amdhsa_group_segment_fixed_size 0
		.amdhsa_private_segment_fixed_size 0
		.amdhsa_kernarg_size 312
		.amdhsa_user_sgpr_count 2
		.amdhsa_user_sgpr_dispatch_ptr 0
		.amdhsa_user_sgpr_queue_ptr 0
		.amdhsa_user_sgpr_kernarg_segment_ptr 1
		.amdhsa_user_sgpr_dispatch_id 0
		.amdhsa_user_sgpr_private_segment_size 0
		.amdhsa_wavefront_size32 1
		.amdhsa_uses_dynamic_stack 0
		.amdhsa_enable_private_segment 0
		.amdhsa_system_sgpr_workgroup_id_x 1
		.amdhsa_system_sgpr_workgroup_id_y 0
		.amdhsa_system_sgpr_workgroup_id_z 0
		.amdhsa_system_sgpr_workgroup_info 0
		.amdhsa_system_vgpr_workitem_id 0
		.amdhsa_next_free_vgpr 39
		.amdhsa_next_free_sgpr 15
		.amdhsa_reserve_vcc 1
		.amdhsa_float_round_mode_32 0
		.amdhsa_float_round_mode_16_64 0
		.amdhsa_float_denorm_mode_32 3
		.amdhsa_float_denorm_mode_16_64 3
		.amdhsa_fp16_overflow 0
		.amdhsa_workgroup_processor_mode 1
		.amdhsa_memory_ordered 1
		.amdhsa_forward_progress 1
		.amdhsa_inst_pref_size 29
		.amdhsa_round_robin_scheduling 0
		.amdhsa_exception_fp_ieee_invalid_op 0
		.amdhsa_exception_fp_denorm_src 0
		.amdhsa_exception_fp_ieee_div_zero 0
		.amdhsa_exception_fp_ieee_overflow 0
		.amdhsa_exception_fp_ieee_underflow 0
		.amdhsa_exception_fp_ieee_inexact 0
		.amdhsa_exception_int_div_zero 0
	.end_amdhsa_kernel
	.section	.text._Z30fast_hadamard_transform_kernelI37fast_hadamard_transform_kernel_traitsILi32ELi9E14__hip_bfloat16EEv18HadamardParamsBase,"axG",@progbits,_Z30fast_hadamard_transform_kernelI37fast_hadamard_transform_kernel_traitsILi32ELi9E14__hip_bfloat16EEv18HadamardParamsBase,comdat
.Lfunc_end32:
	.size	_Z30fast_hadamard_transform_kernelI37fast_hadamard_transform_kernel_traitsILi32ELi9E14__hip_bfloat16EEv18HadamardParamsBase, .Lfunc_end32-_Z30fast_hadamard_transform_kernelI37fast_hadamard_transform_kernel_traitsILi32ELi9E14__hip_bfloat16EEv18HadamardParamsBase
                                        ; -- End function
	.set _Z30fast_hadamard_transform_kernelI37fast_hadamard_transform_kernel_traitsILi32ELi9E14__hip_bfloat16EEv18HadamardParamsBase.num_vgpr, 39
	.set _Z30fast_hadamard_transform_kernelI37fast_hadamard_transform_kernel_traitsILi32ELi9E14__hip_bfloat16EEv18HadamardParamsBase.num_agpr, 0
	.set _Z30fast_hadamard_transform_kernelI37fast_hadamard_transform_kernel_traitsILi32ELi9E14__hip_bfloat16EEv18HadamardParamsBase.numbered_sgpr, 15
	.set _Z30fast_hadamard_transform_kernelI37fast_hadamard_transform_kernel_traitsILi32ELi9E14__hip_bfloat16EEv18HadamardParamsBase.num_named_barrier, 0
	.set _Z30fast_hadamard_transform_kernelI37fast_hadamard_transform_kernel_traitsILi32ELi9E14__hip_bfloat16EEv18HadamardParamsBase.private_seg_size, 0
	.set _Z30fast_hadamard_transform_kernelI37fast_hadamard_transform_kernel_traitsILi32ELi9E14__hip_bfloat16EEv18HadamardParamsBase.uses_vcc, 1
	.set _Z30fast_hadamard_transform_kernelI37fast_hadamard_transform_kernel_traitsILi32ELi9E14__hip_bfloat16EEv18HadamardParamsBase.uses_flat_scratch, 0
	.set _Z30fast_hadamard_transform_kernelI37fast_hadamard_transform_kernel_traitsILi32ELi9E14__hip_bfloat16EEv18HadamardParamsBase.has_dyn_sized_stack, 0
	.set _Z30fast_hadamard_transform_kernelI37fast_hadamard_transform_kernel_traitsILi32ELi9E14__hip_bfloat16EEv18HadamardParamsBase.has_recursion, 0
	.set _Z30fast_hadamard_transform_kernelI37fast_hadamard_transform_kernel_traitsILi32ELi9E14__hip_bfloat16EEv18HadamardParamsBase.has_indirect_call, 0
	.section	.AMDGPU.csdata,"",@progbits
; Kernel info:
; codeLenInByte = 3636
; TotalNumSgprs: 17
; NumVgprs: 39
; ScratchSize: 0
; MemoryBound: 0
; FloatMode: 240
; IeeeMode: 1
; LDSByteSize: 0 bytes/workgroup (compile time only)
; SGPRBlocks: 0
; VGPRBlocks: 4
; NumSGPRsForWavesPerEU: 17
; NumVGPRsForWavesPerEU: 39
; Occupancy: 16
; WaveLimiterHint : 0
; COMPUTE_PGM_RSRC2:SCRATCH_EN: 0
; COMPUTE_PGM_RSRC2:USER_SGPR: 2
; COMPUTE_PGM_RSRC2:TRAP_HANDLER: 0
; COMPUTE_PGM_RSRC2:TGID_X_EN: 1
; COMPUTE_PGM_RSRC2:TGID_Y_EN: 0
; COMPUTE_PGM_RSRC2:TGID_Z_EN: 0
; COMPUTE_PGM_RSRC2:TIDIG_COMP_CNT: 0
	.section	.text._Z30fast_hadamard_transform_kernelI37fast_hadamard_transform_kernel_traitsILi128ELi10E14__hip_bfloat16EEv18HadamardParamsBase,"axG",@progbits,_Z30fast_hadamard_transform_kernelI37fast_hadamard_transform_kernel_traitsILi128ELi10E14__hip_bfloat16EEv18HadamardParamsBase,comdat
	.protected	_Z30fast_hadamard_transform_kernelI37fast_hadamard_transform_kernel_traitsILi128ELi10E14__hip_bfloat16EEv18HadamardParamsBase ; -- Begin function _Z30fast_hadamard_transform_kernelI37fast_hadamard_transform_kernel_traitsILi128ELi10E14__hip_bfloat16EEv18HadamardParamsBase
	.globl	_Z30fast_hadamard_transform_kernelI37fast_hadamard_transform_kernel_traitsILi128ELi10E14__hip_bfloat16EEv18HadamardParamsBase
	.p2align	8
	.type	_Z30fast_hadamard_transform_kernelI37fast_hadamard_transform_kernel_traitsILi128ELi10E14__hip_bfloat16EEv18HadamardParamsBase,@function
_Z30fast_hadamard_transform_kernelI37fast_hadamard_transform_kernel_traitsILi128ELi10E14__hip_bfloat16EEv18HadamardParamsBase: ; @_Z30fast_hadamard_transform_kernelI37fast_hadamard_transform_kernel_traitsILi128ELi10E14__hip_bfloat16EEv18HadamardParamsBase
; %bb.0:
	s_load_b32 s2, s[0:1], 0x4
	v_dual_mov_b32 v6, 0 :: v_dual_lshlrev_b32 v9, 3, v0
	v_dual_mov_b32 v2, 0 :: v_dual_mov_b32 v3, 0
	v_dual_mov_b32 v4, 0 :: v_dual_mov_b32 v5, 0
	;; [unrolled: 1-line block ×3, first 2 shown]
	v_lshlrev_b32_e32 v1, 4, v0
	s_mov_b32 s8, ttmp9
	s_ashr_i32 s9, ttmp9, 31
	s_wait_kmcnt 0x0
	v_cmp_gt_u32_e32 vcc_lo, s2, v9
	v_mov_b32_e32 v9, 0
	s_and_saveexec_b32 s2, vcc_lo
	s_cbranch_execz .LBB33_2
; %bb.1:
	s_clause 0x1
	s_load_b64 s[4:5], s[0:1], 0x10
	s_load_b64 s[6:7], s[0:1], 0x28
	s_wait_kmcnt 0x0
	s_mul_u64 s[4:5], s[4:5], s[8:9]
	s_delay_alu instid0(SALU_CYCLE_1) | instskip(NEXT) | instid1(SALU_CYCLE_1)
	s_lshl_b64 s[4:5], s[4:5], 1
	s_add_nc_u64 s[4:5], s[6:7], s[4:5]
	global_load_b128 v[10:13], v1, s[4:5]
	s_wait_loadcnt 0x0
	v_lshlrev_b32_e32 v9, 16, v10
	v_and_b32_e32 v8, 0xffff0000, v10
	v_lshlrev_b32_e32 v7, 16, v11
	v_and_b32_e32 v6, 0xffff0000, v11
	;; [unrolled: 2-line block ×4, first 2 shown]
.LBB33_2:
	s_wait_alu 0xfffe
	s_or_b32 exec_lo, exec_lo, s2
	v_mbcnt_lo_u32_b32 v11, -1, 0
	v_add_f32_e32 v10, v8, v9
	v_dual_sub_f32 v8, v9, v8 :: v_dual_add_f32 v9, v6, v7
	v_sub_f32_e32 v6, v7, v6
	s_delay_alu instid0(VALU_DEP_4) | instskip(SKIP_2) | instid1(VALU_DEP_4)
	v_xor_b32_e32 v12, 1, v11
	v_dual_add_f32 v7, v4, v5 :: v_dual_sub_f32 v4, v5, v4
	v_dual_add_f32 v5, v2, v3 :: v_dual_sub_f32 v2, v3, v2
	v_add_f32_e32 v13, v6, v8
	s_delay_alu instid0(VALU_DEP_4)
	v_cmp_gt_i32_e64 s2, 32, v12
	v_xor_b32_e32 v20, 2, v11
	v_xor_b32_e32 v22, 4, v11
	s_barrier_signal -1
	s_wait_alu 0xf1ff
	v_cndmask_b32_e64 v12, v11, v12, s2
	v_add_f32_e32 v3, v9, v10
	v_dual_sub_f32 v9, v10, v9 :: v_dual_add_f32 v14, v5, v7
	v_add_f32_e32 v15, v2, v4
	s_delay_alu instid0(VALU_DEP_4) | instskip(SKIP_1) | instid1(VALU_DEP_4)
	v_dual_sub_f32 v5, v7, v5 :: v_dual_lshlrev_b32 v12, 2, v12
	v_sub_f32_e32 v6, v8, v6
	v_add_f32_e32 v10, v14, v3
	v_dual_sub_f32 v3, v3, v14 :: v_dual_and_b32 v8, 1, v0
	v_dual_add_f32 v16, v15, v13 :: v_dual_sub_f32 v13, v13, v15
	v_sub_f32_e32 v2, v4, v2
	s_delay_alu instid0(VALU_DEP_3)
	v_cmp_eq_u32_e64 s2, 0, v8
	ds_bpermute_b32 v15, v12, v3
	ds_bpermute_b32 v4, v12, v10
	;; [unrolled: 1-line block ×3, first 2 shown]
	v_add_f32_e32 v17, v5, v9
	v_sub_f32_e32 v5, v9, v5
	s_wait_alu 0xf1ff
	v_cndmask_b32_e64 v3, -v3, v3, s2
	v_add_f32_e32 v18, v2, v6
	ds_bpermute_b32 v19, v12, v13
	ds_bpermute_b32 v8, v12, v17
	v_cndmask_b32_e64 v9, -v10, v10, s2
	v_cndmask_b32_e64 v10, -v16, v16, s2
	v_cmp_gt_i32_e64 s3, 32, v20
	v_sub_f32_e32 v2, v6, v2
	v_cndmask_b32_e64 v13, -v13, v13, s2
	v_cmp_gt_i32_e64 s4, 32, v22
	s_barrier_wait -1
	s_wait_alu 0xf1ff
	v_cndmask_b32_e64 v6, v11, v20, s3
	s_wait_dscnt 0x0
	global_inv scope:SCOPE_SE
	v_add_f32_e32 v3, v3, v15
	ds_bpermute_b32 v14, v12, v18
	v_dual_add_f32 v4, v9, v4 :: v_dual_add_f32 v7, v10, v7
	v_cndmask_b32_e64 v9, -v17, v17, s2
	v_cndmask_b32_e64 v10, -v18, v18, s2
	v_lshlrev_b32_e32 v16, 2, v6
	ds_bpermute_b32 v6, v12, v5
	v_cndmask_b32_e64 v5, -v5, v5, s2
	s_wait_dscnt 0x1
	v_dual_add_f32 v8, v9, v8 :: v_dual_add_f32 v9, v10, v14
	v_dual_add_f32 v10, v13, v19 :: v_dual_and_b32 v13, 2, v0
	ds_bpermute_b32 v17, v12, v2
	v_cndmask_b32_e64 v2, -v2, v2, s2
	ds_bpermute_b32 v19, v16, v9
	s_wait_dscnt 0x2
	v_add_f32_e32 v5, v5, v6
	v_cmp_eq_u32_e64 s3, 0, v13
	v_cndmask_b32_e64 v6, v11, v22, s4
	v_xor_b32_e32 v22, 8, v11
	s_wait_alu 0xf1ff
	s_delay_alu instid0(VALU_DEP_3) | instskip(NEXT) | instid1(VALU_DEP_2)
	v_cndmask_b32_e64 v9, -v9, v9, s3
	v_cmp_gt_i32_e64 s5, 32, v22
	s_wait_dscnt 0x0
	s_delay_alu instid0(VALU_DEP_2)
	v_dual_add_f32 v2, v2, v17 :: v_dual_add_f32 v9, v9, v19
	ds_bpermute_b32 v14, v16, v7
	ds_bpermute_b32 v18, v16, v4
	ds_bpermute_b32 v15, v16, v8
	ds_bpermute_b32 v20, v16, v3
	ds_bpermute_b32 v13, v16, v5
	v_cndmask_b32_e64 v7, -v7, v7, s3
	v_cndmask_b32_e64 v4, -v4, v4, s3
	;; [unrolled: 1-line block ×3, first 2 shown]
	ds_bpermute_b32 v17, v16, v2
	v_cndmask_b32_e64 v3, -v3, v3, s3
	v_cndmask_b32_e64 v5, -v5, v5, s3
	v_lshlrev_b32_e32 v6, 2, v6
	v_cndmask_b32_e64 v2, -v2, v2, s3
	s_wait_dscnt 0x5
	v_add_f32_e32 v7, v7, v14
	ds_bpermute_b32 v21, v16, v10
	s_wait_dscnt 0x3
	v_dual_add_f32 v4, v4, v18 :: v_dual_add_f32 v3, v3, v20
	s_wait_dscnt 0x2
	v_add_f32_e32 v5, v5, v13
	ds_bpermute_b32 v20, v6, v9
	s_wait_alu 0xf1ff
	v_cndmask_b32_e64 v13, v11, v22, s5
	v_add_f32_e32 v8, v8, v15
	ds_bpermute_b32 v15, v6, v7
	v_and_b32_e32 v14, 4, v0
	v_cndmask_b32_e64 v10, -v10, v10, s3
	ds_bpermute_b32 v18, v6, v4
	v_lshlrev_b32_e32 v13, 2, v13
	ds_bpermute_b32 v19, v6, v8
	v_cmp_eq_u32_e64 s4, 0, v14
	s_wait_alu 0xf1ff
	s_delay_alu instid0(VALU_DEP_1)
	v_cndmask_b32_e64 v7, -v7, v7, s4
	v_cndmask_b32_e64 v9, -v9, v9, s4
	s_wait_dscnt 0x4
	v_add_f32_e32 v10, v10, v21
	v_add_f32_e32 v2, v2, v17
	ds_bpermute_b32 v21, v6, v3
	ds_bpermute_b32 v17, v6, v5
	s_wait_dscnt 0x5
	v_add_f32_e32 v9, v9, v20
	v_cndmask_b32_e64 v4, -v4, v4, s4
	v_cndmask_b32_e64 v8, -v8, v8, s4
	s_wait_dscnt 0x4
	v_add_f32_e32 v7, v7, v15
	ds_bpermute_b32 v14, v6, v10
	ds_bpermute_b32 v6, v6, v2
	s_wait_dscnt 0x5
	v_dual_add_f32 v4, v4, v18 :: v_dual_and_b32 v15, 8, v0
	v_cndmask_b32_e64 v3, -v3, v3, s4
	v_cndmask_b32_e64 v10, -v10, v10, s4
	;; [unrolled: 1-line block ×4, first 2 shown]
	v_cmp_eq_u32_e64 s4, 0, v15
	ds_bpermute_b32 v15, v13, v9
	s_wait_dscnt 0x5
	v_add_f32_e32 v8, v8, v19
	ds_bpermute_b32 v19, v13, v7
	ds_bpermute_b32 v18, v13, v4
	s_wait_alu 0xf1ff
	v_cndmask_b32_e64 v9, -v9, v9, s4
	s_wait_dscnt 0x6
	v_add_f32_e32 v3, v3, v21
	s_wait_dscnt 0x5
	v_add_f32_e32 v5, v5, v17
	ds_bpermute_b32 v20, v13, v8
	v_cndmask_b32_e64 v4, -v4, v4, s4
	v_cndmask_b32_e64 v8, -v8, v8, s4
	ds_bpermute_b32 v21, v13, v3
	ds_bpermute_b32 v17, v13, v5
	s_wait_dscnt 0x6
	v_add_f32_e32 v2, v2, v6
	v_cndmask_b32_e64 v6, -v7, v7, s4
	v_xor_b32_e32 v7, 16, v11
	v_cndmask_b32_e64 v3, -v3, v3, s4
	v_cndmask_b32_e64 v5, -v5, v5, s4
	s_delay_alu instid0(VALU_DEP_3)
	v_cmp_gt_i32_e64 s5, 32, v7
	s_wait_dscnt 0x5
	v_add_f32_e32 v9, v9, v15
	s_wait_dscnt 0x4
	v_add_f32_e32 v6, v6, v19
	;; [unrolled: 2-line block ×3, first 2 shown]
	s_wait_alu 0xf1ff
	v_cndmask_b32_e64 v7, v11, v7, s5
	s_delay_alu instid0(VALU_DEP_1)
	v_dual_add_f32 v10, v10, v14 :: v_dual_lshlrev_b32 v7, 2, v7
	ds_bpermute_b32 v14, v13, v10
	ds_bpermute_b32 v13, v13, v2
	s_wait_dscnt 0x3
	v_add_f32_e32 v3, v3, v21
	v_and_b32_e32 v21, 16, v0
	v_cndmask_b32_e64 v10, -v10, v10, s4
	ds_bpermute_b32 v11, v7, v4
	v_cndmask_b32_e64 v2, -v2, v2, s4
	v_add_f32_e32 v8, v8, v20
	v_cmp_eq_u32_e64 s4, 0, v21
	ds_bpermute_b32 v15, v7, v6
	ds_bpermute_b32 v19, v7, v9
	;; [unrolled: 1-line block ×3, first 2 shown]
	s_wait_dscnt 0x4
	v_add_f32_e32 v13, v2, v13
	ds_bpermute_b32 v18, v7, v8
	s_wait_alu 0xf1ff
	v_cndmask_b32_e64 v2, -v4, v4, s4
	v_cndmask_b32_e64 v4, -v6, v6, s4
	v_add_f32_e32 v10, v10, v14
	v_cndmask_b32_e64 v6, -v9, v9, s4
	v_add_f32_e32 v14, v5, v17
	ds_bpermute_b32 v22, v7, v13
	v_cndmask_b32_e64 v5, -v8, v8, s4
	ds_bpermute_b32 v17, v7, v10
	s_wait_dscnt 0x6
	v_dual_add_f32 v2, v2, v11 :: v_dual_and_b32 v11, 3, v0
	ds_bpermute_b32 v21, v7, v14
	v_cndmask_b32_e64 v7, -v3, v3, s4
	v_lshrrev_b32_e32 v8, 2, v0
	s_wait_dscnt 0x6
	v_add_f32_e32 v3, v4, v15
	v_cndmask_b32_e64 v9, -v10, v10, s4
	v_cndmask_b32_e64 v13, -v13, v13, s4
	s_wait_dscnt 0x3
	v_dual_add_f32 v4, v5, v18 :: v_dual_add_f32 v5, v6, v19
	v_add_f32_e32 v6, v7, v20
	v_lshrrev_b32_e32 v7, 5, v0
	v_cndmask_b32_e64 v10, -v14, v14, s4
	v_lshl_or_b32 v14, v11, 5, v8
	s_delay_alu instid0(VALU_DEP_3)
	v_xor_b32_e32 v0, v7, v0
	s_wait_dscnt 0x1
	v_add_f32_e32 v7, v9, v17
	s_wait_dscnt 0x0
	v_dual_add_f32 v9, v13, v22 :: v_dual_add_f32 v8, v10, v21
	v_xor_b32_e32 v10, v14, v11
	v_lshl_add_u32 v0, v0, 4, 0
	ds_store_b128 v0, v[2:5]
	ds_store_b128 v0, v[6:9] offset:2048
	v_lshl_add_u32 v10, v10, 4, 0
	s_wait_loadcnt_dscnt 0x0
	s_barrier_signal -1
	s_barrier_wait -1
	global_inv scope:SCOPE_SE
	ds_load_b128 v[2:5], v10
	ds_load_b128 v[6:9], v10 offset:2048
	s_wait_loadcnt_dscnt 0x0
	s_barrier_signal -1
	s_barrier_wait -1
	global_inv scope:SCOPE_SE
	ds_bpermute_b32 v13, v12, v3
	v_cndmask_b32_e64 v3, -v3, v3, s2
	ds_bpermute_b32 v11, v12, v2
	ds_bpermute_b32 v14, v12, v4
	;; [unrolled: 1-line block ×7, first 2 shown]
	v_cndmask_b32_e64 v2, -v2, v2, s2
	v_cndmask_b32_e64 v4, -v4, v4, s2
	;; [unrolled: 1-line block ×7, first 2 shown]
	s_wait_dscnt 0x6
	v_dual_add_f32 v3, v3, v13 :: v_dual_add_f32 v2, v2, v11
	s_wait_dscnt 0x4
	v_dual_add_f32 v4, v4, v14 :: v_dual_add_f32 v5, v5, v15
	ds_bpermute_b32 v13, v16, v3
	s_wait_dscnt 0x3
	v_dual_add_f32 v6, v6, v17 :: v_dual_add_f32 v7, v7, v18
	s_wait_dscnt 0x1
	v_add_f32_e32 v9, v9, v12
	v_cndmask_b32_e64 v3, -v3, v3, s3
	v_add_f32_e32 v8, v8, v19
	ds_bpermute_b32 v11, v16, v2
	ds_bpermute_b32 v14, v16, v4
	;; [unrolled: 1-line block ×5, first 2 shown]
	v_cndmask_b32_e64 v2, -v2, v2, s3
	v_cndmask_b32_e64 v4, -v4, v4, s3
	;; [unrolled: 1-line block ×5, first 2 shown]
	s_wait_dscnt 0x5
	v_add_f32_e32 v3, v3, v13
	ds_bpermute_b32 v18, v16, v8
	ds_bpermute_b32 v16, v16, v9
	v_cndmask_b32_e64 v8, -v8, v8, s3
	v_cndmask_b32_e64 v9, -v9, v9, s3
	s_wait_dscnt 0x6
	v_add_f32_e32 v2, v2, v11
	s_wait_dscnt 0x4
	v_dual_add_f32 v4, v4, v14 :: v_dual_add_f32 v5, v5, v12
	s_wait_dscnt 0x2
	v_dual_add_f32 v6, v6, v15 :: v_dual_add_f32 v7, v7, v17
	;; [unrolled: 2-line block ×3, first 2 shown]
	ds_store_b128 v10, v[2:5]
	ds_store_b128 v10, v[6:9] offset:2048
	s_wait_loadcnt_dscnt 0x0
	s_barrier_signal -1
	s_barrier_wait -1
	global_inv scope:SCOPE_SE
	s_and_saveexec_b32 s2, vcc_lo
	s_cbranch_execz .LBB33_4
; %bb.3:
	s_load_b96 s[4:6], s[0:1], 0x18
	ds_load_b128 v[2:5], v0 offset:2048
	ds_load_b128 v[6:9], v0
	s_load_b64 s[0:1], s[0:1], 0x30
	s_wait_dscnt 0x1
	s_wait_kmcnt 0x0
	v_dual_mul_f32 v0, s6, v5 :: v_dual_mul_f32 v3, s6, v3
	s_wait_dscnt 0x0
	v_dual_mul_f32 v4, s6, v4 :: v_dual_mul_f32 v5, s6, v9
	v_dual_mul_f32 v2, s6, v2 :: v_dual_mul_f32 v7, s6, v7
	s_delay_alu instid0(VALU_DEP_3) | instskip(SKIP_1) | instid1(VALU_DEP_4)
	v_bfe_u32 v9, v0, 16, 1
	v_or_b32_e32 v10, 0x400000, v0
	v_bfe_u32 v11, v4, 16, 1
	v_cmp_u_f32_e32 vcc_lo, v0, v0
	v_or_b32_e32 v12, 0x400000, v4
	v_add3_u32 v9, v9, v0, 0x7fff
	v_bfe_u32 v13, v3, 16, 1
	v_add3_u32 v11, v11, v4, 0x7fff
	v_or_b32_e32 v14, 0x400000, v3
	v_bfe_u32 v15, v2, 16, 1
	v_cndmask_b32_e32 v0, v9, v10, vcc_lo
	v_cmp_u_f32_e32 vcc_lo, v4, v4
	v_add3_u32 v13, v13, v3, 0x7fff
	v_or_b32_e32 v16, 0x400000, v2
	v_bfe_u32 v17, v5, 16, 1
	v_add3_u32 v15, v15, v2, 0x7fff
	s_wait_alu 0xfffd
	v_cndmask_b32_e32 v4, v11, v12, vcc_lo
	v_cmp_u_f32_e32 vcc_lo, v3, v3
	v_mul_f32_e32 v8, s6, v8
	v_or_b32_e32 v18, 0x400000, v5
	v_add3_u32 v17, v17, v5, 0x7fff
	v_bfe_u32 v9, v7, 16, 1
	s_wait_alu 0xfffd
	v_cndmask_b32_e32 v3, v13, v14, vcc_lo
	v_cmp_u_f32_e32 vcc_lo, v2, v2
	v_bfe_u32 v19, v8, 16, 1
	v_or_b32_e32 v12, 0x400000, v8
	v_add3_u32 v9, v9, v7, 0x7fff
	v_or_b32_e32 v13, 0x400000, v7
	s_wait_alu 0xfffd
	v_cndmask_b32_e32 v2, v15, v16, vcc_lo
	v_cmp_u_f32_e32 vcc_lo, v5, v5
	v_add3_u32 v11, v19, v8, 0x7fff
	s_mul_u64 s[2:3], s[4:5], s[8:9]
	s_wait_alu 0xfffe
	s_lshl_b64 s[2:3], s[2:3], 1
	s_wait_alu 0xfffd
	v_cndmask_b32_e32 v10, v17, v18, vcc_lo
	v_cmp_u_f32_e32 vcc_lo, v8, v8
	s_wait_alu 0xfffe
	s_add_nc_u64 s[0:1], s[0:1], s[2:3]
	s_wait_alu 0xfffd
	v_cndmask_b32_e32 v8, v11, v12, vcc_lo
	v_cmp_u_f32_e32 vcc_lo, v7, v7
	s_wait_alu 0xfffd
	v_dual_mul_f32 v6, s6, v6 :: v_dual_cndmask_b32 v7, v9, v13
	s_delay_alu instid0(VALU_DEP_1) | instskip(SKIP_2) | instid1(VALU_DEP_3)
	v_bfe_u32 v5, v6, 16, 1
	v_or_b32_e32 v14, 0x400000, v6
	v_cmp_u_f32_e32 vcc_lo, v6, v6
	v_add3_u32 v5, v5, v6, 0x7fff
	s_wait_alu 0xfffd
	s_delay_alu instid0(VALU_DEP_1) | instskip(SKIP_3) | instid1(VALU_DEP_4)
	v_cndmask_b32_e32 v6, v5, v14, vcc_lo
	v_perm_b32 v5, v0, v4, 0x7060302
	v_perm_b32 v4, v3, v2, 0x7060302
	;; [unrolled: 1-line block ×4, first 2 shown]
	global_store_b128 v1, v[2:5], s[0:1]
.LBB33_4:
	s_endpgm
	.section	.rodata,"a",@progbits
	.p2align	6, 0x0
	.amdhsa_kernel _Z30fast_hadamard_transform_kernelI37fast_hadamard_transform_kernel_traitsILi128ELi10E14__hip_bfloat16EEv18HadamardParamsBase
		.amdhsa_group_segment_fixed_size 0
		.amdhsa_private_segment_fixed_size 0
		.amdhsa_kernarg_size 56
		.amdhsa_user_sgpr_count 2
		.amdhsa_user_sgpr_dispatch_ptr 0
		.amdhsa_user_sgpr_queue_ptr 0
		.amdhsa_user_sgpr_kernarg_segment_ptr 1
		.amdhsa_user_sgpr_dispatch_id 0
		.amdhsa_user_sgpr_private_segment_size 0
		.amdhsa_wavefront_size32 1
		.amdhsa_uses_dynamic_stack 0
		.amdhsa_enable_private_segment 0
		.amdhsa_system_sgpr_workgroup_id_x 1
		.amdhsa_system_sgpr_workgroup_id_y 0
		.amdhsa_system_sgpr_workgroup_id_z 0
		.amdhsa_system_sgpr_workgroup_info 0
		.amdhsa_system_vgpr_workitem_id 0
		.amdhsa_next_free_vgpr 23
		.amdhsa_next_free_sgpr 10
		.amdhsa_reserve_vcc 1
		.amdhsa_float_round_mode_32 0
		.amdhsa_float_round_mode_16_64 0
		.amdhsa_float_denorm_mode_32 3
		.amdhsa_float_denorm_mode_16_64 3
		.amdhsa_fp16_overflow 0
		.amdhsa_workgroup_processor_mode 1
		.amdhsa_memory_ordered 1
		.amdhsa_forward_progress 1
		.amdhsa_inst_pref_size 20
		.amdhsa_round_robin_scheduling 0
		.amdhsa_exception_fp_ieee_invalid_op 0
		.amdhsa_exception_fp_denorm_src 0
		.amdhsa_exception_fp_ieee_div_zero 0
		.amdhsa_exception_fp_ieee_overflow 0
		.amdhsa_exception_fp_ieee_underflow 0
		.amdhsa_exception_fp_ieee_inexact 0
		.amdhsa_exception_int_div_zero 0
	.end_amdhsa_kernel
	.section	.text._Z30fast_hadamard_transform_kernelI37fast_hadamard_transform_kernel_traitsILi128ELi10E14__hip_bfloat16EEv18HadamardParamsBase,"axG",@progbits,_Z30fast_hadamard_transform_kernelI37fast_hadamard_transform_kernel_traitsILi128ELi10E14__hip_bfloat16EEv18HadamardParamsBase,comdat
.Lfunc_end33:
	.size	_Z30fast_hadamard_transform_kernelI37fast_hadamard_transform_kernel_traitsILi128ELi10E14__hip_bfloat16EEv18HadamardParamsBase, .Lfunc_end33-_Z30fast_hadamard_transform_kernelI37fast_hadamard_transform_kernel_traitsILi128ELi10E14__hip_bfloat16EEv18HadamardParamsBase
                                        ; -- End function
	.set _Z30fast_hadamard_transform_kernelI37fast_hadamard_transform_kernel_traitsILi128ELi10E14__hip_bfloat16EEv18HadamardParamsBase.num_vgpr, 23
	.set _Z30fast_hadamard_transform_kernelI37fast_hadamard_transform_kernel_traitsILi128ELi10E14__hip_bfloat16EEv18HadamardParamsBase.num_agpr, 0
	.set _Z30fast_hadamard_transform_kernelI37fast_hadamard_transform_kernel_traitsILi128ELi10E14__hip_bfloat16EEv18HadamardParamsBase.numbered_sgpr, 10
	.set _Z30fast_hadamard_transform_kernelI37fast_hadamard_transform_kernel_traitsILi128ELi10E14__hip_bfloat16EEv18HadamardParamsBase.num_named_barrier, 0
	.set _Z30fast_hadamard_transform_kernelI37fast_hadamard_transform_kernel_traitsILi128ELi10E14__hip_bfloat16EEv18HadamardParamsBase.private_seg_size, 0
	.set _Z30fast_hadamard_transform_kernelI37fast_hadamard_transform_kernel_traitsILi128ELi10E14__hip_bfloat16EEv18HadamardParamsBase.uses_vcc, 1
	.set _Z30fast_hadamard_transform_kernelI37fast_hadamard_transform_kernel_traitsILi128ELi10E14__hip_bfloat16EEv18HadamardParamsBase.uses_flat_scratch, 0
	.set _Z30fast_hadamard_transform_kernelI37fast_hadamard_transform_kernel_traitsILi128ELi10E14__hip_bfloat16EEv18HadamardParamsBase.has_dyn_sized_stack, 0
	.set _Z30fast_hadamard_transform_kernelI37fast_hadamard_transform_kernel_traitsILi128ELi10E14__hip_bfloat16EEv18HadamardParamsBase.has_recursion, 0
	.set _Z30fast_hadamard_transform_kernelI37fast_hadamard_transform_kernel_traitsILi128ELi10E14__hip_bfloat16EEv18HadamardParamsBase.has_indirect_call, 0
	.section	.AMDGPU.csdata,"",@progbits
; Kernel info:
; codeLenInByte = 2480
; TotalNumSgprs: 12
; NumVgprs: 23
; ScratchSize: 0
; MemoryBound: 0
; FloatMode: 240
; IeeeMode: 1
; LDSByteSize: 0 bytes/workgroup (compile time only)
; SGPRBlocks: 0
; VGPRBlocks: 2
; NumSGPRsForWavesPerEU: 12
; NumVGPRsForWavesPerEU: 23
; Occupancy: 16
; WaveLimiterHint : 0
; COMPUTE_PGM_RSRC2:SCRATCH_EN: 0
; COMPUTE_PGM_RSRC2:USER_SGPR: 2
; COMPUTE_PGM_RSRC2:TRAP_HANDLER: 0
; COMPUTE_PGM_RSRC2:TGID_X_EN: 1
; COMPUTE_PGM_RSRC2:TGID_Y_EN: 0
; COMPUTE_PGM_RSRC2:TGID_Z_EN: 0
; COMPUTE_PGM_RSRC2:TIDIG_COMP_CNT: 0
	.section	.text._Z30fast_hadamard_transform_kernelI37fast_hadamard_transform_kernel_traitsILi256ELi11E14__hip_bfloat16EEv18HadamardParamsBase,"axG",@progbits,_Z30fast_hadamard_transform_kernelI37fast_hadamard_transform_kernel_traitsILi256ELi11E14__hip_bfloat16EEv18HadamardParamsBase,comdat
	.protected	_Z30fast_hadamard_transform_kernelI37fast_hadamard_transform_kernel_traitsILi256ELi11E14__hip_bfloat16EEv18HadamardParamsBase ; -- Begin function _Z30fast_hadamard_transform_kernelI37fast_hadamard_transform_kernel_traitsILi256ELi11E14__hip_bfloat16EEv18HadamardParamsBase
	.globl	_Z30fast_hadamard_transform_kernelI37fast_hadamard_transform_kernel_traitsILi256ELi11E14__hip_bfloat16EEv18HadamardParamsBase
	.p2align	8
	.type	_Z30fast_hadamard_transform_kernelI37fast_hadamard_transform_kernel_traitsILi256ELi11E14__hip_bfloat16EEv18HadamardParamsBase,@function
_Z30fast_hadamard_transform_kernelI37fast_hadamard_transform_kernel_traitsILi256ELi11E14__hip_bfloat16EEv18HadamardParamsBase: ; @_Z30fast_hadamard_transform_kernelI37fast_hadamard_transform_kernel_traitsILi256ELi11E14__hip_bfloat16EEv18HadamardParamsBase
; %bb.0:
	s_load_b32 s2, s[0:1], 0x4
	v_dual_mov_b32 v6, 0 :: v_dual_lshlrev_b32 v9, 3, v0
	v_dual_mov_b32 v2, 0 :: v_dual_mov_b32 v3, 0
	v_dual_mov_b32 v4, 0 :: v_dual_mov_b32 v5, 0
	;; [unrolled: 1-line block ×3, first 2 shown]
	v_lshlrev_b32_e32 v1, 4, v0
	s_mov_b32 s8, ttmp9
	s_ashr_i32 s9, ttmp9, 31
	s_wait_kmcnt 0x0
	v_cmp_gt_u32_e32 vcc_lo, s2, v9
	v_mov_b32_e32 v9, 0
	s_and_saveexec_b32 s2, vcc_lo
	s_cbranch_execz .LBB34_2
; %bb.1:
	s_clause 0x1
	s_load_b64 s[4:5], s[0:1], 0x10
	s_load_b64 s[6:7], s[0:1], 0x28
	s_wait_kmcnt 0x0
	s_mul_u64 s[4:5], s[4:5], s[8:9]
	s_delay_alu instid0(SALU_CYCLE_1) | instskip(NEXT) | instid1(SALU_CYCLE_1)
	s_lshl_b64 s[4:5], s[4:5], 1
	s_add_nc_u64 s[4:5], s[6:7], s[4:5]
	global_load_b128 v[10:13], v1, s[4:5]
	s_wait_loadcnt 0x0
	v_lshlrev_b32_e32 v9, 16, v10
	v_and_b32_e32 v8, 0xffff0000, v10
	v_lshlrev_b32_e32 v7, 16, v11
	v_and_b32_e32 v6, 0xffff0000, v11
	;; [unrolled: 2-line block ×4, first 2 shown]
.LBB34_2:
	s_wait_alu 0xfffe
	s_or_b32 exec_lo, exec_lo, s2
	v_mbcnt_lo_u32_b32 v11, -1, 0
	v_add_f32_e32 v10, v8, v9
	v_dual_sub_f32 v8, v9, v8 :: v_dual_add_f32 v9, v6, v7
	v_sub_f32_e32 v6, v7, v6
	s_delay_alu instid0(VALU_DEP_4) | instskip(SKIP_2) | instid1(VALU_DEP_4)
	v_xor_b32_e32 v12, 1, v11
	v_dual_add_f32 v7, v4, v5 :: v_dual_sub_f32 v4, v5, v4
	v_dual_add_f32 v5, v2, v3 :: v_dual_sub_f32 v2, v3, v2
	v_add_f32_e32 v13, v6, v8
	s_delay_alu instid0(VALU_DEP_4)
	v_cmp_gt_i32_e64 s2, 32, v12
	v_xor_b32_e32 v20, 2, v11
	v_xor_b32_e32 v22, 4, v11
	s_barrier_signal -1
	s_wait_alu 0xf1ff
	v_cndmask_b32_e64 v12, v11, v12, s2
	v_add_f32_e32 v3, v9, v10
	v_dual_sub_f32 v9, v10, v9 :: v_dual_add_f32 v14, v5, v7
	v_add_f32_e32 v15, v2, v4
	s_delay_alu instid0(VALU_DEP_4) | instskip(SKIP_1) | instid1(VALU_DEP_4)
	v_dual_sub_f32 v5, v7, v5 :: v_dual_lshlrev_b32 v12, 2, v12
	v_sub_f32_e32 v6, v8, v6
	v_add_f32_e32 v10, v14, v3
	v_dual_sub_f32 v3, v3, v14 :: v_dual_and_b32 v8, 1, v0
	v_dual_add_f32 v16, v15, v13 :: v_dual_sub_f32 v13, v13, v15
	v_sub_f32_e32 v2, v4, v2
	s_delay_alu instid0(VALU_DEP_3)
	v_cmp_eq_u32_e64 s2, 0, v8
	ds_bpermute_b32 v15, v12, v3
	ds_bpermute_b32 v4, v12, v10
	;; [unrolled: 1-line block ×3, first 2 shown]
	v_add_f32_e32 v17, v5, v9
	v_sub_f32_e32 v5, v9, v5
	v_cmp_gt_i32_e64 s3, 32, v20
	s_wait_alu 0xf1ff
	v_cndmask_b32_e64 v3, -v3, v3, s2
	v_add_f32_e32 v18, v2, v6
	ds_bpermute_b32 v8, v12, v17
	v_sub_f32_e32 v2, v6, v2
	v_cndmask_b32_e64 v6, v11, v20, s3
	ds_bpermute_b32 v19, v12, v13
	v_cndmask_b32_e64 v9, -v10, v10, s2
	v_cndmask_b32_e64 v10, -v16, v16, s2
	;; [unrolled: 1-line block ×3, first 2 shown]
	v_lshlrev_b32_e32 v16, 2, v6
	ds_bpermute_b32 v6, v12, v5
	v_cndmask_b32_e64 v5, -v5, v5, s2
	v_cmp_gt_i32_e64 s4, 32, v22
	s_barrier_wait -1
	s_wait_dscnt 0x5
	v_add_f32_e32 v3, v3, v15
	ds_bpermute_b32 v14, v12, v18
	s_wait_dscnt 0x4
	v_dual_add_f32 v4, v9, v4 :: v_dual_add_f32 v7, v10, v7
	v_cndmask_b32_e64 v9, -v17, v17, s2
	v_cndmask_b32_e64 v10, -v18, v18, s2
	s_wait_dscnt 0x0
	global_inv scope:SCOPE_SE
	v_add_f32_e32 v8, v9, v8
	v_add_f32_e32 v5, v5, v6
	v_cndmask_b32_e64 v6, v11, v22, s4
	v_xor_b32_e32 v22, 8, v11
	v_dual_add_f32 v9, v10, v14 :: v_dual_add_f32 v10, v13, v19
	v_and_b32_e32 v13, 2, v0
	ds_bpermute_b32 v17, v12, v2
	v_cndmask_b32_e64 v2, -v2, v2, s2
	ds_bpermute_b32 v19, v16, v9
	v_cmp_gt_i32_e64 s5, 32, v22
	v_cmp_eq_u32_e64 s3, 0, v13
	v_lshlrev_b32_e32 v13, 2, v6
	s_wait_alu 0xf1ff
	s_delay_alu instid0(VALU_DEP_2) | instskip(SKIP_1) | instid1(VALU_DEP_1)
	v_cndmask_b32_e64 v9, -v9, v9, s3
	s_wait_dscnt 0x0
	v_dual_add_f32 v2, v2, v17 :: v_dual_add_f32 v9, v9, v19
	ds_bpermute_b32 v14, v16, v7
	ds_bpermute_b32 v15, v16, v8
	;; [unrolled: 1-line block ×6, first 2 shown]
	v_cndmask_b32_e64 v7, -v7, v7, s3
	ds_bpermute_b32 v17, v16, v2
	v_cndmask_b32_e64 v8, -v8, v8, s3
	v_cndmask_b32_e64 v4, -v4, v4, s3
	;; [unrolled: 1-line block ×6, first 2 shown]
	s_wait_dscnt 0x5
	v_dual_add_f32 v7, v7, v14 :: v_dual_add_f32 v8, v8, v15
	s_wait_dscnt 0x4
	v_add_f32_e32 v4, v4, v18
	s_wait_dscnt 0x2
	v_dual_add_f32 v10, v10, v21 :: v_dual_add_f32 v5, v5, v6
	ds_bpermute_b32 v15, v13, v7
	v_and_b32_e32 v14, 4, v0
	s_wait_dscnt 0x2
	v_add_f32_e32 v3, v3, v20
	ds_bpermute_b32 v18, v13, v4
	ds_bpermute_b32 v19, v13, v8
	;; [unrolled: 1-line block ×3, first 2 shown]
	v_cmp_eq_u32_e64 s4, 0, v14
	ds_bpermute_b32 v21, v13, v3
	v_cndmask_b32_e64 v6, v11, v22, s5
	ds_bpermute_b32 v14, v13, v10
	s_wait_alu 0xf1ff
	v_cndmask_b32_e64 v9, -v9, v9, s4
	s_wait_dscnt 0x6
	v_add_f32_e32 v2, v2, v17
	ds_bpermute_b32 v17, v13, v5
	v_cndmask_b32_e64 v7, -v7, v7, s4
	v_cndmask_b32_e64 v4, -v4, v4, s4
	;; [unrolled: 1-line block ×4, first 2 shown]
	v_lshlrev_b32_e32 v6, 2, v6
	v_cndmask_b32_e64 v3, -v3, v3, s4
	s_wait_dscnt 0x6
	v_add_f32_e32 v7, v7, v15
	v_and_b32_e32 v15, 8, v0
	v_cndmask_b32_e64 v10, -v10, v10, s4
	s_wait_dscnt 0x5
	v_add_f32_e32 v4, v4, v18
	s_wait_dscnt 0x3
	v_dual_add_f32 v8, v8, v19 :: v_dual_add_f32 v9, v9, v20
	ds_bpermute_b32 v18, v13, v2
	v_cmp_eq_u32_e64 s5, 0, v15
	s_wait_dscnt 0x3
	v_add_f32_e32 v3, v3, v21
	v_cndmask_b32_e64 v2, -v2, v2, s4
	s_wait_dscnt 0x1
	v_add_f32_e32 v5, v5, v17
	ds_bpermute_b32 v19, v6, v7
	ds_bpermute_b32 v22, v6, v4
	s_wait_alu 0xf1ff
	v_cndmask_b32_e64 v7, -v7, v7, s5
	v_add_f32_e32 v10, v10, v14
	v_xor_b32_e32 v14, 16, v11
	ds_bpermute_b32 v15, v6, v9
	ds_bpermute_b32 v20, v6, v8
	;; [unrolled: 1-line block ×3, first 2 shown]
	v_cndmask_b32_e64 v4, -v4, v4, s5
	v_cmp_gt_i32_e64 s6, 32, v14
	v_cndmask_b32_e64 v9, -v9, v9, s5
	v_cndmask_b32_e64 v8, -v8, v8, s5
	;; [unrolled: 1-line block ×3, first 2 shown]
	s_delay_alu instid0(VALU_DEP_4)
	v_cndmask_b32_e64 v11, v11, v14, s6
	s_wait_dscnt 0x5
	v_add_f32_e32 v2, v2, v18
	ds_bpermute_b32 v18, v6, v5
	v_cndmask_b32_e64 v5, -v5, v5, s5
	v_lshlrev_b32_e32 v11, 2, v11
	s_wait_dscnt 0x5
	v_add_f32_e32 v7, v7, v19
	ds_bpermute_b32 v17, v6, v10
	ds_bpermute_b32 v6, v6, v2
	s_wait_dscnt 0x6
	v_add_f32_e32 v4, v4, v22
	v_cndmask_b32_e64 v10, -v10, v10, s5
	s_wait_dscnt 0x5
	v_add_f32_e32 v9, v9, v15
	ds_bpermute_b32 v15, v11, v7
	s_wait_dscnt 0x4
	v_dual_add_f32 v8, v8, v20 :: v_dual_add_f32 v3, v3, v21
	ds_bpermute_b32 v14, v11, v4
	v_and_b32_e32 v22, 16, v0
	ds_bpermute_b32 v20, v11, v9
	ds_bpermute_b32 v19, v11, v8
	;; [unrolled: 1-line block ×3, first 2 shown]
	v_cndmask_b32_e64 v2, -v2, v2, s5
	s_wait_dscnt 0x6
	v_dual_add_f32 v10, v10, v17 :: v_dual_add_f32 v17, v5, v18
	v_cmp_eq_u32_e64 s5, 0, v22
	s_wait_dscnt 0x5
	v_add_f32_e32 v18, v2, v6
	ds_bpermute_b32 v23, v11, v17
	s_wait_alu 0xf1ff
	v_cndmask_b32_e64 v2, -v4, v4, s5
	v_cndmask_b32_e64 v4, -v7, v7, s5
	;; [unrolled: 1-line block ×5, first 2 shown]
	s_wait_dscnt 0x4
	v_dual_add_f32 v2, v2, v14 :: v_dual_add_f32 v3, v4, v15
	ds_bpermute_b32 v22, v11, v10
	ds_bpermute_b32 v11, v11, v18
	v_and_b32_e32 v14, 7, v0
	v_lshrrev_b32_e32 v8, 3, v0
	s_wait_dscnt 0x4
	v_dual_add_f32 v4, v5, v19 :: v_dual_add_f32 v5, v6, v20
	v_cndmask_b32_e64 v9, -v10, v10, s5
	s_wait_dscnt 0x3
	v_add_f32_e32 v6, v7, v21
	v_lshrrev_b32_e32 v7, 5, v0
	v_cndmask_b32_e64 v10, -v17, v17, s5
	v_lshl_or_b32 v17, v14, 5, v8
	v_cndmask_b32_e64 v15, -v18, v18, s5
	s_delay_alu instid0(VALU_DEP_4) | instskip(SKIP_3) | instid1(VALU_DEP_3)
	v_xor_b32_e32 v0, v7, v0
	s_wait_dscnt 0x2
	v_add_f32_e32 v8, v10, v23
	v_xor_b32_e32 v10, v17, v14
	v_lshl_add_u32 v0, v0, 4, 0
	s_delay_alu instid0(VALU_DEP_2)
	v_lshl_add_u32 v10, v10, 4, 0
	s_wait_dscnt 0x1
	v_add_f32_e32 v7, v9, v22
	s_wait_dscnt 0x0
	v_add_f32_e32 v9, v15, v11
	ds_store_b128 v0, v[2:5]
	ds_store_b128 v0, v[6:9] offset:4096
	s_wait_loadcnt_dscnt 0x0
	s_barrier_signal -1
	s_barrier_wait -1
	global_inv scope:SCOPE_SE
	ds_load_b128 v[2:5], v10
	ds_load_b128 v[6:9], v10 offset:4096
	s_wait_loadcnt_dscnt 0x0
	s_barrier_signal -1
	s_barrier_wait -1
	global_inv scope:SCOPE_SE
	ds_bpermute_b32 v17, v12, v5
	ds_bpermute_b32 v11, v12, v2
	;; [unrolled: 1-line block ×8, first 2 shown]
	v_cndmask_b32_e64 v5, -v5, v5, s2
	v_cndmask_b32_e64 v2, -v2, v2, s2
	;; [unrolled: 1-line block ×8, first 2 shown]
	s_wait_dscnt 0x6
	v_dual_add_f32 v5, v5, v17 :: v_dual_add_f32 v2, v2, v11
	s_wait_dscnt 0x5
	v_add_f32_e32 v3, v3, v14
	s_wait_dscnt 0x2
	v_add_f32_e32 v7, v7, v19
	;; [unrolled: 2-line block ×3, first 2 shown]
	ds_bpermute_b32 v12, v16, v5
	ds_bpermute_b32 v14, v16, v3
	v_cndmask_b32_e64 v5, -v5, v5, s3
	v_add_f32_e32 v6, v6, v18
	ds_bpermute_b32 v18, v16, v7
	v_cndmask_b32_e64 v3, -v3, v3, s3
	v_add_f32_e32 v4, v4, v15
	v_cndmask_b32_e64 v7, -v7, v7, s3
	v_add_f32_e32 v8, v8, v20
	ds_bpermute_b32 v11, v16, v2
	v_cndmask_b32_e64 v2, -v2, v2, s3
	s_wait_dscnt 0x3
	v_add_f32_e32 v5, v5, v12
	ds_bpermute_b32 v17, v16, v6
	s_wait_dscnt 0x3
	v_add_f32_e32 v3, v3, v14
	ds_bpermute_b32 v15, v16, v4
	v_cndmask_b32_e64 v6, -v6, v6, s3
	s_wait_dscnt 0x3
	v_add_f32_e32 v7, v7, v18
	ds_bpermute_b32 v19, v16, v8
	ds_bpermute_b32 v16, v16, v9
	;; [unrolled: 1-line block ×4, first 2 shown]
	v_cndmask_b32_e64 v5, -v5, v5, s4
	v_cndmask_b32_e64 v4, -v4, v4, s3
	;; [unrolled: 1-line block ×4, first 2 shown]
	s_wait_dscnt 0x6
	v_add_f32_e32 v2, v2, v11
	v_cndmask_b32_e64 v3, -v3, v3, s4
	s_wait_dscnt 0x5
	v_add_f32_e32 v6, v6, v17
	ds_bpermute_b32 v17, v13, v7
	s_wait_dscnt 0x5
	v_add_f32_e32 v4, v4, v15
	v_cndmask_b32_e64 v7, -v7, v7, s4
	s_wait_dscnt 0x3
	v_dual_add_f32 v8, v8, v19 :: v_dual_add_f32 v9, v9, v16
	ds_bpermute_b32 v11, v13, v2
	s_wait_dscnt 0x3
	v_add_f32_e32 v3, v3, v14
	ds_bpermute_b32 v15, v13, v4
	s_wait_dscnt 0x3
	v_add_f32_e32 v5, v5, v12
	ds_bpermute_b32 v16, v13, v6
	v_cndmask_b32_e64 v2, -v2, v2, s4
	v_cndmask_b32_e64 v4, -v4, v4, s4
	;; [unrolled: 1-line block ×3, first 2 shown]
	s_wait_dscnt 0x3
	v_add_f32_e32 v7, v7, v17
	ds_bpermute_b32 v18, v13, v8
	ds_bpermute_b32 v13, v13, v9
	v_cndmask_b32_e64 v8, -v8, v8, s4
	v_cndmask_b32_e64 v9, -v9, v9, s4
	s_wait_dscnt 0x4
	v_add_f32_e32 v2, v2, v11
	s_wait_dscnt 0x3
	v_add_f32_e32 v4, v4, v15
	;; [unrolled: 2-line block ×3, first 2 shown]
	s_wait_dscnt 0x0
	v_dual_add_f32 v8, v8, v18 :: v_dual_add_f32 v9, v9, v13
	ds_store_b128 v10, v[2:5]
	ds_store_b128 v10, v[6:9] offset:4096
	s_wait_loadcnt_dscnt 0x0
	s_barrier_signal -1
	s_barrier_wait -1
	global_inv scope:SCOPE_SE
	s_and_saveexec_b32 s2, vcc_lo
	s_cbranch_execz .LBB34_4
; %bb.3:
	s_load_b96 s[4:6], s[0:1], 0x18
	ds_load_b128 v[2:5], v0 offset:4096
	ds_load_b128 v[6:9], v0
	s_load_b64 s[0:1], s[0:1], 0x30
	s_wait_dscnt 0x1
	s_wait_kmcnt 0x0
	v_dual_mul_f32 v0, s6, v5 :: v_dual_mul_f32 v3, s6, v3
	s_wait_dscnt 0x0
	v_dual_mul_f32 v4, s6, v4 :: v_dual_mul_f32 v5, s6, v9
	v_dual_mul_f32 v2, s6, v2 :: v_dual_mul_f32 v7, s6, v7
	s_delay_alu instid0(VALU_DEP_3) | instskip(SKIP_1) | instid1(VALU_DEP_4)
	v_bfe_u32 v9, v0, 16, 1
	v_or_b32_e32 v10, 0x400000, v0
	v_bfe_u32 v11, v4, 16, 1
	v_cmp_u_f32_e32 vcc_lo, v0, v0
	v_or_b32_e32 v12, 0x400000, v4
	v_add3_u32 v9, v9, v0, 0x7fff
	v_bfe_u32 v13, v3, 16, 1
	v_add3_u32 v11, v11, v4, 0x7fff
	v_or_b32_e32 v14, 0x400000, v3
	v_bfe_u32 v15, v2, 16, 1
	v_cndmask_b32_e32 v0, v9, v10, vcc_lo
	v_cmp_u_f32_e32 vcc_lo, v4, v4
	v_add3_u32 v13, v13, v3, 0x7fff
	v_or_b32_e32 v16, 0x400000, v2
	v_bfe_u32 v17, v5, 16, 1
	v_add3_u32 v15, v15, v2, 0x7fff
	s_wait_alu 0xfffd
	v_cndmask_b32_e32 v4, v11, v12, vcc_lo
	v_cmp_u_f32_e32 vcc_lo, v3, v3
	v_mul_f32_e32 v8, s6, v8
	v_or_b32_e32 v18, 0x400000, v5
	v_add3_u32 v17, v17, v5, 0x7fff
	v_bfe_u32 v9, v7, 16, 1
	s_wait_alu 0xfffd
	v_cndmask_b32_e32 v3, v13, v14, vcc_lo
	v_cmp_u_f32_e32 vcc_lo, v2, v2
	v_bfe_u32 v19, v8, 16, 1
	v_or_b32_e32 v12, 0x400000, v8
	v_add3_u32 v9, v9, v7, 0x7fff
	v_or_b32_e32 v13, 0x400000, v7
	s_wait_alu 0xfffd
	v_cndmask_b32_e32 v2, v15, v16, vcc_lo
	v_cmp_u_f32_e32 vcc_lo, v5, v5
	v_add3_u32 v11, v19, v8, 0x7fff
	s_mul_u64 s[2:3], s[4:5], s[8:9]
	s_wait_alu 0xfffe
	s_lshl_b64 s[2:3], s[2:3], 1
	s_wait_alu 0xfffd
	v_cndmask_b32_e32 v10, v17, v18, vcc_lo
	v_cmp_u_f32_e32 vcc_lo, v8, v8
	s_wait_alu 0xfffe
	s_add_nc_u64 s[0:1], s[0:1], s[2:3]
	s_wait_alu 0xfffd
	v_cndmask_b32_e32 v8, v11, v12, vcc_lo
	v_cmp_u_f32_e32 vcc_lo, v7, v7
	s_wait_alu 0xfffd
	v_dual_mul_f32 v6, s6, v6 :: v_dual_cndmask_b32 v7, v9, v13
	s_delay_alu instid0(VALU_DEP_1) | instskip(SKIP_2) | instid1(VALU_DEP_3)
	v_bfe_u32 v5, v6, 16, 1
	v_or_b32_e32 v14, 0x400000, v6
	v_cmp_u_f32_e32 vcc_lo, v6, v6
	v_add3_u32 v5, v5, v6, 0x7fff
	s_wait_alu 0xfffd
	s_delay_alu instid0(VALU_DEP_1) | instskip(SKIP_3) | instid1(VALU_DEP_4)
	v_cndmask_b32_e32 v6, v5, v14, vcc_lo
	v_perm_b32 v5, v0, v4, 0x7060302
	v_perm_b32 v4, v3, v2, 0x7060302
	;; [unrolled: 1-line block ×4, first 2 shown]
	global_store_b128 v1, v[2:5], s[0:1]
.LBB34_4:
	s_endpgm
	.section	.rodata,"a",@progbits
	.p2align	6, 0x0
	.amdhsa_kernel _Z30fast_hadamard_transform_kernelI37fast_hadamard_transform_kernel_traitsILi256ELi11E14__hip_bfloat16EEv18HadamardParamsBase
		.amdhsa_group_segment_fixed_size 0
		.amdhsa_private_segment_fixed_size 0
		.amdhsa_kernarg_size 56
		.amdhsa_user_sgpr_count 2
		.amdhsa_user_sgpr_dispatch_ptr 0
		.amdhsa_user_sgpr_queue_ptr 0
		.amdhsa_user_sgpr_kernarg_segment_ptr 1
		.amdhsa_user_sgpr_dispatch_id 0
		.amdhsa_user_sgpr_private_segment_size 0
		.amdhsa_wavefront_size32 1
		.amdhsa_uses_dynamic_stack 0
		.amdhsa_enable_private_segment 0
		.amdhsa_system_sgpr_workgroup_id_x 1
		.amdhsa_system_sgpr_workgroup_id_y 0
		.amdhsa_system_sgpr_workgroup_id_z 0
		.amdhsa_system_sgpr_workgroup_info 0
		.amdhsa_system_vgpr_workitem_id 0
		.amdhsa_next_free_vgpr 24
		.amdhsa_next_free_sgpr 10
		.amdhsa_reserve_vcc 1
		.amdhsa_float_round_mode_32 0
		.amdhsa_float_round_mode_16_64 0
		.amdhsa_float_denorm_mode_32 3
		.amdhsa_float_denorm_mode_16_64 3
		.amdhsa_fp16_overflow 0
		.amdhsa_workgroup_processor_mode 1
		.amdhsa_memory_ordered 1
		.amdhsa_forward_progress 1
		.amdhsa_inst_pref_size 21
		.amdhsa_round_robin_scheduling 0
		.amdhsa_exception_fp_ieee_invalid_op 0
		.amdhsa_exception_fp_denorm_src 0
		.amdhsa_exception_fp_ieee_div_zero 0
		.amdhsa_exception_fp_ieee_overflow 0
		.amdhsa_exception_fp_ieee_underflow 0
		.amdhsa_exception_fp_ieee_inexact 0
		.amdhsa_exception_int_div_zero 0
	.end_amdhsa_kernel
	.section	.text._Z30fast_hadamard_transform_kernelI37fast_hadamard_transform_kernel_traitsILi256ELi11E14__hip_bfloat16EEv18HadamardParamsBase,"axG",@progbits,_Z30fast_hadamard_transform_kernelI37fast_hadamard_transform_kernel_traitsILi256ELi11E14__hip_bfloat16EEv18HadamardParamsBase,comdat
.Lfunc_end34:
	.size	_Z30fast_hadamard_transform_kernelI37fast_hadamard_transform_kernel_traitsILi256ELi11E14__hip_bfloat16EEv18HadamardParamsBase, .Lfunc_end34-_Z30fast_hadamard_transform_kernelI37fast_hadamard_transform_kernel_traitsILi256ELi11E14__hip_bfloat16EEv18HadamardParamsBase
                                        ; -- End function
	.set _Z30fast_hadamard_transform_kernelI37fast_hadamard_transform_kernel_traitsILi256ELi11E14__hip_bfloat16EEv18HadamardParamsBase.num_vgpr, 24
	.set _Z30fast_hadamard_transform_kernelI37fast_hadamard_transform_kernel_traitsILi256ELi11E14__hip_bfloat16EEv18HadamardParamsBase.num_agpr, 0
	.set _Z30fast_hadamard_transform_kernelI37fast_hadamard_transform_kernel_traitsILi256ELi11E14__hip_bfloat16EEv18HadamardParamsBase.numbered_sgpr, 10
	.set _Z30fast_hadamard_transform_kernelI37fast_hadamard_transform_kernel_traitsILi256ELi11E14__hip_bfloat16EEv18HadamardParamsBase.num_named_barrier, 0
	.set _Z30fast_hadamard_transform_kernelI37fast_hadamard_transform_kernel_traitsILi256ELi11E14__hip_bfloat16EEv18HadamardParamsBase.private_seg_size, 0
	.set _Z30fast_hadamard_transform_kernelI37fast_hadamard_transform_kernel_traitsILi256ELi11E14__hip_bfloat16EEv18HadamardParamsBase.uses_vcc, 1
	.set _Z30fast_hadamard_transform_kernelI37fast_hadamard_transform_kernel_traitsILi256ELi11E14__hip_bfloat16EEv18HadamardParamsBase.uses_flat_scratch, 0
	.set _Z30fast_hadamard_transform_kernelI37fast_hadamard_transform_kernel_traitsILi256ELi11E14__hip_bfloat16EEv18HadamardParamsBase.has_dyn_sized_stack, 0
	.set _Z30fast_hadamard_transform_kernelI37fast_hadamard_transform_kernel_traitsILi256ELi11E14__hip_bfloat16EEv18HadamardParamsBase.has_recursion, 0
	.set _Z30fast_hadamard_transform_kernelI37fast_hadamard_transform_kernel_traitsILi256ELi11E14__hip_bfloat16EEv18HadamardParamsBase.has_indirect_call, 0
	.section	.AMDGPU.csdata,"",@progbits
; Kernel info:
; codeLenInByte = 2664
; TotalNumSgprs: 12
; NumVgprs: 24
; ScratchSize: 0
; MemoryBound: 0
; FloatMode: 240
; IeeeMode: 1
; LDSByteSize: 0 bytes/workgroup (compile time only)
; SGPRBlocks: 0
; VGPRBlocks: 2
; NumSGPRsForWavesPerEU: 12
; NumVGPRsForWavesPerEU: 24
; Occupancy: 16
; WaveLimiterHint : 0
; COMPUTE_PGM_RSRC2:SCRATCH_EN: 0
; COMPUTE_PGM_RSRC2:USER_SGPR: 2
; COMPUTE_PGM_RSRC2:TRAP_HANDLER: 0
; COMPUTE_PGM_RSRC2:TGID_X_EN: 1
; COMPUTE_PGM_RSRC2:TGID_Y_EN: 0
; COMPUTE_PGM_RSRC2:TGID_Z_EN: 0
; COMPUTE_PGM_RSRC2:TIDIG_COMP_CNT: 0
	.section	.text._Z30fast_hadamard_transform_kernelI37fast_hadamard_transform_kernel_traitsILi256ELi12E14__hip_bfloat16EEv18HadamardParamsBase,"axG",@progbits,_Z30fast_hadamard_transform_kernelI37fast_hadamard_transform_kernel_traitsILi256ELi12E14__hip_bfloat16EEv18HadamardParamsBase,comdat
	.protected	_Z30fast_hadamard_transform_kernelI37fast_hadamard_transform_kernel_traitsILi256ELi12E14__hip_bfloat16EEv18HadamardParamsBase ; -- Begin function _Z30fast_hadamard_transform_kernelI37fast_hadamard_transform_kernel_traitsILi256ELi12E14__hip_bfloat16EEv18HadamardParamsBase
	.globl	_Z30fast_hadamard_transform_kernelI37fast_hadamard_transform_kernel_traitsILi256ELi12E14__hip_bfloat16EEv18HadamardParamsBase
	.p2align	8
	.type	_Z30fast_hadamard_transform_kernelI37fast_hadamard_transform_kernel_traitsILi256ELi12E14__hip_bfloat16EEv18HadamardParamsBase,@function
_Z30fast_hadamard_transform_kernelI37fast_hadamard_transform_kernel_traitsILi256ELi12E14__hip_bfloat16EEv18HadamardParamsBase: ; @_Z30fast_hadamard_transform_kernelI37fast_hadamard_transform_kernel_traitsILi256ELi12E14__hip_bfloat16EEv18HadamardParamsBase
; %bb.0:
	s_clause 0x3
	s_load_b128 s[8:11], s[0:1], 0x10
	s_load_b32 s3, s[0:1], 0x4
	s_load_b128 s[12:15], s[0:1], 0x28
	s_load_b32 s6, s[0:1], 0x44
	v_dual_mov_b32 v5, 0 :: v_dual_lshlrev_b32 v8, 3, v0
	s_mov_b32 s16, ttmp9
	s_ashr_i32 s17, ttmp9, 31
	v_dual_mov_b32 v1, 0 :: v_dual_mov_b32 v2, 0
	v_dual_mov_b32 v3, 0 :: v_dual_mov_b32 v4, 0
	;; [unrolled: 1-line block ×3, first 2 shown]
	v_lshlrev_b32_e32 v17, 4, v0
	v_mov_b32_e32 v9, 0
	s_wait_kmcnt 0x0
	s_mul_u64 s[4:5], s[8:9], s[16:17]
	v_cmp_gt_u32_e64 s2, s3, v8
	v_mov_b32_e32 v8, 0
	s_lshl_b64 s[4:5], s[4:5], 1
	s_delay_alu instid0(SALU_CYCLE_1)
	s_add_nc_u64 s[4:5], s[12:13], s[4:5]
	s_and_saveexec_b32 s7, s2
	s_cbranch_execz .LBB35_2
; %bb.1:
	global_load_b128 v[10:13], v17, s[4:5]
	s_wait_loadcnt 0x0
	v_lshlrev_b32_e32 v9, 16, v10
	v_and_b32_e32 v8, 0xffff0000, v10
	v_lshlrev_b32_e32 v7, 16, v11
	v_and_b32_e32 v6, 0xffff0000, v11
	;; [unrolled: 2-line block ×4, first 2 shown]
.LBB35_2:
	s_or_b32 exec_lo, exec_lo, s7
	s_and_b32 s6, 0xffff, s6
	v_dual_mov_b32 v10, 0 :: v_dual_mov_b32 v13, 0
	v_dual_mov_b32 v11, 0 :: v_dual_add_nc_u32 v16, s6, v0
	v_dual_mov_b32 v12, 0 :: v_dual_mov_b32 v15, 0
	v_mov_b32_e32 v14, 0
	s_delay_alu instid0(VALU_DEP_3) | instskip(SKIP_1) | instid1(VALU_DEP_2)
	v_lshlrev_b32_e32 v18, 3, v16
	v_lshlrev_b32_e32 v16, 4, v16
	v_cmp_gt_u32_e32 vcc_lo, s3, v18
	v_mov_b32_e32 v18, 0
	s_and_saveexec_b32 s3, vcc_lo
	s_cbranch_execz .LBB35_4
; %bb.3:
	global_load_b128 v[19:22], v16, s[4:5]
	s_wait_loadcnt 0x0
	v_lshlrev_b32_e32 v18, 16, v19
	v_and_b32_e32 v15, 0xffff0000, v19
	v_lshlrev_b32_e32 v14, 16, v20
	v_and_b32_e32 v13, 0xffff0000, v20
	;; [unrolled: 2-line block ×4, first 2 shown]
.LBB35_4:
	s_wait_alu 0xfffe
	s_or_b32 exec_lo, exec_lo, s3
	v_mbcnt_lo_u32_b32 v20, -1, 0
	v_dual_add_f32 v19, v8, v9 :: v_dual_sub_f32 v8, v9, v8
	v_add_f32_e32 v9, v15, v18
	v_sub_f32_e32 v15, v18, v15
	s_delay_alu instid0(VALU_DEP_4)
	v_xor_b32_e32 v21, 1, v20
	v_add_f32_e32 v18, v6, v7
	v_sub_f32_e32 v6, v7, v6
	v_add_f32_e32 v7, v13, v14
	v_sub_f32_e32 v13, v14, v13
	;; [unrolled: 2-line block ×6, first 2 shown]
	v_cmp_gt_i32_e64 s3, 32, v21
	v_add_f32_e32 v10, v18, v19
	v_sub_f32_e32 v18, v19, v18
	v_add_f32_e32 v19, v7, v9
	v_sub_f32_e32 v7, v9, v7
	v_dual_add_f32 v9, v6, v8 :: v_dual_sub_f32 v6, v8, v6
	v_dual_add_f32 v8, v13, v15 :: v_dual_sub_f32 v13, v15, v13
	;; [unrolled: 1-line block ×6, first 2 shown]
	s_wait_alu 0xf1ff
	v_cndmask_b32_e64 v1, v20, v21, s3
	v_add_f32_e32 v22, v15, v10
	v_sub_f32_e32 v10, v10, v15
	v_dual_add_f32 v15, v14, v19 :: v_dual_sub_f32 v14, v19, v14
	s_delay_alu instid0(VALU_DEP_4)
	v_lshlrev_b32_e32 v1, 2, v1
	v_add_f32_e32 v19, v5, v9
	v_sub_f32_e32 v5, v9, v5
	v_add_f32_e32 v9, v12, v18
	v_dual_add_f32 v21, v4, v8 :: v_dual_add_f32 v26, v2, v6
	v_sub_f32_e32 v4, v8, v4
	v_sub_f32_e32 v12, v18, v12
	ds_bpermute_b32 v8, v1, v22
	v_dual_add_f32 v25, v3, v7 :: v_dual_and_b32 v18, 1, v0
	v_sub_f32_e32 v2, v6, v2
	ds_bpermute_b32 v23, v1, v19
	ds_bpermute_b32 v27, v1, v12
	v_cmp_eq_u32_e64 s3, 0, v18
	ds_bpermute_b32 v18, v1, v10
	ds_bpermute_b32 v28, v1, v2
	s_wait_dscnt 0x0
	s_barrier_signal -1
	s_wait_alu 0xf1ff
	v_cndmask_b32_e64 v6, -v22, v22, s3
	v_cndmask_b32_e64 v10, -v10, v10, s3
	v_sub_f32_e32 v3, v7, v3
	ds_bpermute_b32 v7, v1, v26
	v_cndmask_b32_e64 v19, -v19, v19, s3
	v_cndmask_b32_e64 v12, -v12, v12, s3
	v_add_f32_e32 v29, v11, v13
	v_cndmask_b32_e64 v2, -v2, v2, s3
	ds_bpermute_b32 v22, v1, v5
	v_add_f32_e32 v6, v6, v8
	ds_bpermute_b32 v24, v1, v9
	v_cndmask_b32_e64 v9, -v9, v9, s3
	v_cndmask_b32_e64 v5, -v5, v5, s3
	v_add_f32_e32 v8, v19, v23
	ds_bpermute_b32 v23, v1, v21
	ds_bpermute_b32 v19, v1, v15
	v_add_f32_e32 v10, v10, v18
	v_xor_b32_e32 v18, 2, v20
	v_add_f32_e32 v12, v12, v27
	v_cndmask_b32_e64 v21, -v21, v21, s3
	s_barrier_wait -1
	s_wait_dscnt 0x0
	global_inv scope:SCOPE_SE
	v_cmp_gt_i32_e64 s4, 32, v18
	s_load_b32 s1, s[0:1], 0x20
	v_cndmask_b32_e64 v18, v20, v18, s4
	v_sub_f32_e32 v11, v13, v11
	v_cndmask_b32_e64 v13, -v26, v26, s3
	v_add_f32_e32 v9, v9, v24
	ds_bpermute_b32 v24, v1, v25
	ds_bpermute_b32 v26, v1, v4
	v_cndmask_b32_e64 v4, -v4, v4, s3
	v_add_f32_e32 v7, v13, v7
	v_add_f32_e32 v13, v2, v28
	v_cndmask_b32_e64 v2, -v15, v15, s3
	ds_bpermute_b32 v15, v1, v29
	v_cndmask_b32_e64 v25, -v25, v25, s3
	v_add_f32_e32 v21, v21, v23
	v_dual_add_f32 v19, v2, v19 :: v_dual_lshlrev_b32 v2, 2, v18
	ds_bpermute_b32 v18, v1, v3
	v_cndmask_b32_e64 v3, -v3, v3, s3
	ds_bpermute_b32 v27, v2, v6
	ds_bpermute_b32 v28, v2, v8
	;; [unrolled: 1-line block ×3, first 2 shown]
	s_wait_dscnt 0x6
	v_add_f32_e32 v23, v25, v24
	v_cndmask_b32_e64 v24, -v29, v29, s3
	ds_bpermute_b32 v25, v1, v11
	s_wait_dscnt 0x6
	v_add_f32_e32 v4, v4, v26
	ds_bpermute_b32 v29, v2, v9
	v_cndmask_b32_e64 v11, -v11, v11, s3
	s_wait_dscnt 0x6
	v_dual_add_f32 v15, v24, v15 :: v_dual_and_b32 v24, 2, v0
	ds_bpermute_b32 v31, v2, v13
	v_cmp_eq_u32_e64 s4, 0, v24
	ds_bpermute_b32 v24, v2, v10
	s_wait_dscnt 0x7
	v_add_f32_e32 v18, v3, v18
	s_wait_alu 0xf1ff
	v_cndmask_b32_e64 v6, -v6, v6, s4
	v_add_f32_e32 v5, v5, v22
	ds_bpermute_b32 v22, v1, v14
	v_cndmask_b32_e64 v14, -v14, v14, s3
	v_cndmask_b32_e64 v3, -v7, v7, s4
	s_wait_dscnt 0x7
	v_add_f32_e32 v6, v6, v27
	ds_bpermute_b32 v26, v2, v5
	v_cndmask_b32_e64 v8, -v8, v8, s4
	v_cndmask_b32_e64 v5, -v5, v5, s4
	s_wait_dscnt 0x5
	v_add_f32_e32 v11, v11, v25
	v_cndmask_b32_e64 v9, -v9, v9, s4
	v_cndmask_b32_e64 v12, -v12, v12, s4
	v_add_f32_e32 v8, v8, v28
	ds_bpermute_b32 v28, v2, v4
	v_cndmask_b32_e64 v4, -v4, v4, s4
	s_wait_dscnt 0x5
	v_dual_add_f32 v9, v9, v29 :: v_dual_add_f32 v12, v12, v30
	v_cndmask_b32_e64 v13, -v13, v13, s4
	s_wait_dscnt 0x2
	v_add_f32_e32 v14, v14, v22
	ds_bpermute_b32 v22, v2, v7
	v_cndmask_b32_e64 v7, -v10, v10, s4
	ds_bpermute_b32 v10, v2, v19
	s_wait_dscnt 0x3
	v_add_f32_e32 v5, v5, v26
	ds_bpermute_b32 v26, v2, v14
	v_cndmask_b32_e64 v14, -v14, v14, s4
	v_add_f32_e32 v7, v7, v24
	v_xor_b32_e32 v24, 4, v20
	ds_bpermute_b32 v25, v2, v21
	v_cndmask_b32_e64 v21, -v21, v21, s4
	s_wait_dscnt 0x4
	v_add_f32_e32 v4, v4, v28
	v_cmp_gt_i32_e64 s5, 32, v24
	s_wait_alu 0xf1ff
	s_delay_alu instid0(VALU_DEP_1)
	v_cndmask_b32_e64 v24, v20, v24, s5
	s_wait_dscnt 0x3
	v_add_f32_e32 v22, v3, v22
	v_cndmask_b32_e64 v3, -v19, v19, s4
	ds_bpermute_b32 v27, v2, v23
	v_cndmask_b32_e64 v23, -v23, v23, s4
	s_wait_dscnt 0x2
	v_add_f32_e32 v14, v14, v26
	v_add_f32_e32 v10, v3, v10
	ds_bpermute_b32 v19, v2, v15
	v_lshlrev_b32_e32 v3, 2, v24
	v_cndmask_b32_e64 v15, -v15, v15, s4
	ds_bpermute_b32 v24, v2, v18
	v_cndmask_b32_e64 v18, -v18, v18, s4
	v_add_f32_e32 v13, v13, v31
	ds_bpermute_b32 v31, v3, v12
	s_wait_dscnt 0x2
	v_add_f32_e32 v15, v15, v19
	v_and_b32_e32 v19, 4, v0
	s_wait_dscnt 0x1
	v_add_f32_e32 v18, v18, v24
	s_delay_alu instid0(VALU_DEP_2) | instskip(SKIP_1) | instid1(VALU_DEP_1)
	v_cmp_eq_u32_e64 s5, 0, v19
	s_wait_alu 0xf1ff
	v_cndmask_b32_e64 v12, -v12, v12, s5
	s_wait_dscnt 0x0
	s_delay_alu instid0(VALU_DEP_1)
	v_add_f32_e32 v12, v12, v31
	ds_bpermute_b32 v29, v3, v8
	ds_bpermute_b32 v26, v3, v7
	v_cndmask_b32_e64 v8, -v8, v8, s5
	v_add_f32_e32 v23, v23, v27
	ds_bpermute_b32 v27, v3, v6
	v_cndmask_b32_e64 v6, -v6, v6, s5
	v_add_f32_e32 v21, v21, v25
	ds_bpermute_b32 v25, v2, v11
	v_cndmask_b32_e64 v7, -v7, v7, s5
	ds_bpermute_b32 v24, v3, v10
	ds_bpermute_b32 v30, v3, v9
	;; [unrolled: 1-line block ×3, first 2 shown]
	v_cndmask_b32_e64 v11, -v11, v11, s4
	v_cndmask_b32_e64 v10, -v10, v10, s5
	v_and_b32_e32 v31, 8, v0
	ds_bpermute_b32 v19, v3, v22
	v_cndmask_b32_e64 v9, -v9, v9, s5
	v_cndmask_b32_e64 v5, -v5, v5, s5
	;; [unrolled: 1-line block ×3, first 2 shown]
	ds_bpermute_b32 v32, v3, v13
	s_wait_dscnt 0x7
	v_dual_add_f32 v8, v8, v29 :: v_dual_add_f32 v7, v7, v26
	v_xor_b32_e32 v26, 8, v20
	ds_bpermute_b32 v29, v3, v4
	s_wait_dscnt 0x7
	v_add_f32_e32 v6, v6, v27
	ds_bpermute_b32 v27, v3, v23
	v_cndmask_b32_e64 v23, -v23, v23, s5
	v_cmp_gt_i32_e64 s6, 32, v26
	v_cndmask_b32_e64 v4, -v4, v4, s5
	s_wait_dscnt 0x6
	v_add_f32_e32 v10, v10, v24
	v_cndmask_b32_e64 v13, -v13, v13, s5
	s_wait_alu 0xf1ff
	v_cndmask_b32_e64 v26, v20, v26, s6
	v_add_f32_e32 v11, v11, v25
	ds_bpermute_b32 v25, v3, v21
	v_cmp_eq_u32_e64 s6, 0, v31
	v_cndmask_b32_e64 v21, -v21, v21, s5
	v_lshlrev_b32_e32 v24, 2, v26
	ds_bpermute_b32 v26, v3, v11
	v_cndmask_b32_e64 v11, -v11, v11, s5
	s_wait_dscnt 0x2
	v_dual_add_f32 v4, v4, v29 :: v_dual_add_f32 v23, v23, v27
	ds_bpermute_b32 v27, v24, v6
	s_wait_alu 0xf1ff
	v_cndmask_b32_e64 v6, -v6, v6, s6
	v_add_f32_e32 v5, v5, v28
	ds_bpermute_b32 v28, v3, v14
	v_cndmask_b32_e64 v14, -v14, v14, s5
	v_add_f32_e32 v9, v9, v30
	ds_bpermute_b32 v30, v24, v8
	v_cndmask_b32_e64 v8, -v8, v8, s6
	s_wait_dscnt 0x4
	v_add_f32_e32 v21, v21, v25
	ds_bpermute_b32 v25, v3, v18
	v_add_f32_e32 v19, v22, v19
	ds_bpermute_b32 v22, v3, v15
	v_cndmask_b32_e64 v18, -v18, v18, s5
	v_cndmask_b32_e64 v15, -v15, v15, s5
	s_wait_dscnt 0x4
	v_dual_add_f32 v11, v11, v26 :: v_dual_add_f32 v6, v6, v27
	ds_bpermute_b32 v31, v24, v5
	v_cndmask_b32_e64 v5, -v5, v5, s6
	s_wait_dscnt 0x4
	v_add_f32_e32 v14, v14, v28
	s_wait_dscnt 0x3
	v_add_f32_e32 v8, v8, v30
	ds_bpermute_b32 v28, v24, v19
	v_cndmask_b32_e64 v19, -v19, v19, s6
	s_wait_dscnt 0x3
	v_add_f32_e32 v18, v18, v25
	ds_bpermute_b32 v25, v24, v10
	ds_bpermute_b32 v30, v24, v4
	v_cndmask_b32_e64 v4, -v4, v4, s6
	s_wait_dscnt 0x4
	v_add_f32_e32 v15, v15, v22
	ds_bpermute_b32 v22, v24, v9
	v_cndmask_b32_e64 v9, -v9, v9, s6
	ds_bpermute_b32 v29, v24, v7
	v_cndmask_b32_e64 v7, -v7, v7, s6
	s_wait_dscnt 0x5
	v_add_f32_e32 v26, v5, v31
	v_cndmask_b32_e64 v5, -v10, v10, s6
	ds_bpermute_b32 v27, v24, v15
	v_cndmask_b32_e64 v15, -v15, v15, s6
	s_wait_dscnt 0x5
	v_add_f32_e32 v19, v19, v28
	v_xor_b32_e32 v28, 16, v20
	s_wait_dscnt 0x4
	v_add_f32_e32 v25, v5, v25
	s_delay_alu instid0(VALU_DEP_2)
	v_cmp_gt_i32_e64 s7, 32, v28
	s_wait_dscnt 0x2
	v_add_f32_e32 v9, v9, v22
	s_wait_dscnt 0x1
	v_add_f32_e32 v7, v7, v29
	ds_bpermute_b32 v29, v24, v14
	s_wait_alu 0xf1ff
	v_cndmask_b32_e64 v5, v20, v28, s7
	v_add_f32_e32 v13, v13, v32
	ds_bpermute_b32 v32, v24, v12
	v_cndmask_b32_e64 v12, -v12, v12, s6
	v_cndmask_b32_e64 v14, -v14, v14, s6
	s_wait_dscnt 0x1
	s_delay_alu instid0(VALU_DEP_1)
	v_add_f32_e32 v14, v14, v29
	s_wait_dscnt 0x0
	v_add_f32_e32 v12, v12, v32
	ds_bpermute_b32 v22, v24, v21
	v_cndmask_b32_e64 v21, -v21, v21, s6
	s_wait_dscnt 0x0
	s_delay_alu instid0(VALU_DEP_1)
	v_add_f32_e32 v20, v21, v22
	v_lshlrev_b32_e32 v22, 2, v5
	ds_bpermute_b32 v33, v24, v13
	ds_bpermute_b32 v5, v24, v18
	;; [unrolled: 1-line block ×3, first 2 shown]
	v_cndmask_b32_e64 v21, -v23, v23, s6
	ds_bpermute_b32 v28, v22, v6
	ds_bpermute_b32 v23, v24, v11
	v_and_b32_e32 v24, 16, v0
	v_cndmask_b32_e64 v13, -v13, v13, s6
	ds_bpermute_b32 v31, v22, v8
	ds_bpermute_b32 v29, v22, v12
	v_cmp_eq_u32_e64 s7, 0, v24
	v_add_f32_e32 v24, v4, v30
	v_cndmask_b32_e64 v4, -v18, v18, s6
	s_wait_alu 0xf1ff
	s_delay_alu instid0(VALU_DEP_3)
	v_cndmask_b32_e64 v6, -v6, v6, s7
	v_cndmask_b32_e64 v8, -v8, v8, s7
	;; [unrolled: 1-line block ×3, first 2 shown]
	s_wait_dscnt 0x6
	v_add_f32_e32 v13, v13, v33
	s_wait_dscnt 0x5
	v_add_f32_e32 v33, v4, v5
	;; [unrolled: 2-line block ×3, first 2 shown]
	v_cndmask_b32_e64 v10, -v11, v11, s6
	s_wait_dscnt 0x3
	v_add_f32_e32 v4, v6, v28
	ds_bpermute_b32 v32, v22, v9
	v_cndmask_b32_e64 v9, -v9, v9, s7
	ds_bpermute_b32 v11, v22, v19
	s_wait_dscnt 0x3
	v_add_f32_e32 v5, v8, v31
	v_cndmask_b32_e64 v8, -v19, v19, s7
	ds_bpermute_b32 v19, v22, v25
	s_wait_dscnt 0x2
	v_add_f32_e32 v6, v9, v32
	ds_bpermute_b32 v18, v22, v7
	v_cndmask_b32_e64 v9, -v7, v7, s7
	v_add_f32_e32 v15, v15, v27
	ds_bpermute_b32 v27, v22, v26
	ds_bpermute_b32 v32, v22, v14
	v_add_f32_e32 v23, v10, v23
	v_cndmask_b32_e64 v10, -v26, v26, s7
	s_wait_dscnt 0x4
	v_add_f32_e32 v7, v8, v11
	ds_bpermute_b32 v26, v22, v20
	s_wait_dscnt 0x3
	v_add_f32_e32 v8, v9, v18
	ds_bpermute_b32 v31, v22, v15
	v_cndmask_b32_e64 v15, -v15, v15, s7
	s_wait_dscnt 0x3
	v_dual_add_f32 v9, v10, v27 :: v_dual_add_f32 v10, v12, v29
	v_cndmask_b32_e64 v12, -v25, v25, s7
	ds_bpermute_b32 v28, v22, v21
	v_cndmask_b32_e64 v18, -v21, v21, s7
	ds_bpermute_b32 v25, v22, v24
	v_cndmask_b32_e64 v21, -v24, v24, s7
	v_add_f32_e32 v12, v12, v19
	ds_bpermute_b32 v30, v22, v13
	v_cndmask_b32_e64 v13, -v13, v13, s7
	v_lshrrev_b32_e32 v19, 5, v0
	s_wait_dscnt 0x3
	v_add_f32_e32 v15, v15, v31
	s_wait_dscnt 0x0
	v_add_f32_e32 v11, v13, v30
	v_cndmask_b32_e64 v13, -v20, v20, s7
	v_cndmask_b32_e64 v20, -v14, v14, s7
	s_delay_alu instid0(VALU_DEP_2) | instskip(NEXT) | instid1(VALU_DEP_2)
	v_dual_add_f32 v14, v18, v28 :: v_dual_add_f32 v13, v13, v26
	v_add_f32_e32 v18, v20, v32
	v_and_b32_e32 v26, 7, v0
	ds_bpermute_b32 v27, v22, v33
	ds_bpermute_b32 v22, v22, v23
	v_lshrrev_b32_e32 v20, 3, v0
	v_cndmask_b32_e64 v23, -v23, v23, s7
	v_xor_b32_e32 v0, v19, v0
	v_add_f32_e32 v19, v21, v25
	v_cndmask_b32_e64 v24, -v33, v33, s7
	v_lshl_or_b32 v28, v26, 5, v20
	s_wait_dscnt 0x0
	s_delay_alu instid0(VALU_DEP_2) | instskip(SKIP_1) | instid1(VALU_DEP_3)
	v_dual_add_f32 v20, v24, v27 :: v_dual_add_f32 v21, v23, v22
	v_lshl_add_u32 v22, v0, 4, 0
	v_xor_b32_e32 v0, v28, v26
	ds_store_b128 v22, v[4:7]
	ds_store_b128 v22, v[8:11] offset:4096
	ds_store_b128 v22, v[12:15] offset:8192
	;; [unrolled: 1-line block ×3, first 2 shown]
	v_lshl_add_u32 v23, v0, 4, 0
	s_wait_loadcnt_dscnt 0x0
	s_barrier_signal -1
	s_barrier_wait -1
	global_inv scope:SCOPE_SE
	ds_load_b128 v[4:7], v23
	ds_load_b128 v[8:11], v23 offset:4096
	ds_load_b128 v[12:15], v23 offset:8192
	ds_load_b128 v[18:21], v23 offset:12288
	s_wait_loadcnt_dscnt 0x0
	s_barrier_signal -1
	s_barrier_wait -1
	global_inv scope:SCOPE_SE
	ds_bpermute_b32 v0, v1, v4
	ds_bpermute_b32 v24, v1, v5
	;; [unrolled: 1-line block ×4, first 2 shown]
	v_cndmask_b32_e64 v4, -v4, v4, s3
	v_cndmask_b32_e64 v5, -v5, v5, s3
	;; [unrolled: 1-line block ×3, first 2 shown]
	ds_bpermute_b32 v27, v1, v8
	ds_bpermute_b32 v28, v1, v9
	;; [unrolled: 1-line block ×6, first 2 shown]
	v_cndmask_b32_e64 v15, -v15, v15, s3
	v_cndmask_b32_e64 v18, -v18, v18, s3
	s_wait_dscnt 0x9
	v_add_f32_e32 v0, v4, v0
	s_wait_dscnt 0x7
	v_dual_add_f32 v4, v5, v24 :: v_dual_add_f32 v5, v6, v25
	v_cndmask_b32_e64 v6, -v7, v7, s3
	v_cndmask_b32_e64 v7, -v8, v8, s3
	v_cndmask_b32_e64 v8, -v9, v9, s3
	v_cndmask_b32_e64 v9, -v10, v10, s3
	v_cndmask_b32_e64 v10, -v11, v11, s3
	ds_bpermute_b32 v11, v1, v12
	ds_bpermute_b32 v24, v1, v13
	;; [unrolled: 1-line block ×3, first 2 shown]
	s_wait_dscnt 0x9
	v_add_f32_e32 v6, v6, v26
	ds_bpermute_b32 v26, v1, v19
	v_cndmask_b32_e64 v12, -v12, v12, s3
	v_cndmask_b32_e64 v13, -v13, v13, s3
	;; [unrolled: 1-line block ×3, first 2 shown]
	s_wait_dscnt 0x7
	v_dual_add_f32 v8, v8, v28 :: v_dual_add_f32 v9, v9, v29
	ds_bpermute_b32 v28, v2, v0
	ds_bpermute_b32 v29, v2, v4
	v_cndmask_b32_e64 v4, -v4, v4, s4
	v_cndmask_b32_e64 v0, -v0, v0, s4
	s_wait_dscnt 0x8
	v_add_f32_e32 v10, v10, v30
	ds_bpermute_b32 v30, v2, v8
	s_wait_dscnt 0x5
	v_dual_add_f32 v11, v12, v11 :: v_dual_add_f32 v12, v13, v24
	s_wait_dscnt 0x4
	v_dual_add_f32 v13, v14, v25 :: v_dual_add_f32 v14, v15, v31
	v_add_f32_e32 v15, v18, v32
	v_cndmask_b32_e64 v18, -v19, v19, s3
	v_add_f32_e32 v7, v7, v27
	ds_bpermute_b32 v27, v1, v20
	ds_bpermute_b32 v1, v1, v21
	v_cndmask_b32_e64 v19, -v20, v20, s3
	s_wait_dscnt 0x5
	v_add_f32_e32 v18, v18, v26
	ds_bpermute_b32 v25, v2, v7
	v_cndmask_b32_e64 v20, -v21, v21, s3
	ds_bpermute_b32 v24, v2, v6
	s_wait_dscnt 0x6
	v_add_f32_e32 v0, v0, v28
	ds_bpermute_b32 v21, v2, v5
	ds_bpermute_b32 v31, v2, v9
	;; [unrolled: 1-line block ×3, first 2 shown]
	s_wait_dscnt 0x5
	v_add_f32_e32 v1, v20, v1
	v_add_f32_e32 v20, v4, v29
	v_cndmask_b32_e64 v4, -v5, v5, s4
	v_cndmask_b32_e64 v5, -v6, v6, s4
	v_cndmask_b32_e64 v6, -v7, v7, s4
	v_cndmask_b32_e64 v7, -v8, v8, s4
	v_cndmask_b32_e64 v8, -v9, v9, s4
	ds_bpermute_b32 v9, v2, v10
	s_wait_dscnt 0x3
	v_add_f32_e32 v21, v4, v21
	v_add_f32_e32 v6, v6, v25
	ds_bpermute_b32 v26, v2, v11
	v_cndmask_b32_e64 v4, -v10, v10, s4
	v_cndmask_b32_e64 v10, -v11, v11, s4
	v_add_f32_e32 v19, v19, v27
	ds_bpermute_b32 v27, v2, v12
	ds_bpermute_b32 v29, v2, v14
	v_cndmask_b32_e64 v11, -v12, v12, s4
	v_cndmask_b32_e64 v12, -v13, v13, s4
	;; [unrolled: 1-line block ×3, first 2 shown]
	ds_bpermute_b32 v14, v2, v15
	s_wait_dscnt 0x6
	v_add_f32_e32 v8, v8, v31
	s_wait_dscnt 0x5
	v_add_f32_e32 v12, v12, v28
	ds_bpermute_b32 v28, v3, v6
	s_wait_dscnt 0x5
	v_add_f32_e32 v9, v4, v9
	v_cndmask_b32_e64 v4, -v15, v15, s4
	v_add_f32_e32 v5, v5, v24
	ds_bpermute_b32 v24, v2, v18
	s_wait_dscnt 0x5
	v_add_f32_e32 v10, v10, v26
	ds_bpermute_b32 v25, v2, v19
	ds_bpermute_b32 v2, v2, v1
	v_cndmask_b32_e64 v15, -v18, v18, s4
	v_cndmask_b32_e64 v18, -v19, v19, s4
	v_add_f32_e32 v7, v7, v30
	ds_bpermute_b32 v30, v3, v0
	v_cndmask_b32_e64 v1, -v1, v1, s4
	v_cndmask_b32_e64 v0, -v0, v0, s5
	s_wait_dscnt 0x5
	v_dual_add_f32 v11, v11, v27 :: v_dual_add_f32 v14, v4, v14
	ds_bpermute_b32 v27, v3, v5
	ds_bpermute_b32 v19, v3, v20
	;; [unrolled: 1-line block ×4, first 2 shown]
	s_wait_dscnt 0x6
	v_add_f32_e32 v18, v18, v25
	ds_bpermute_b32 v25, v3, v8
	s_wait_dscnt 0x6
	v_dual_add_f32 v15, v15, v24 :: v_dual_add_f32 v24, v1, v2
	ds_bpermute_b32 v26, v3, v21
	s_wait_dscnt 0x6
	v_add_f32_e32 v4, v0, v30
	v_cndmask_b32_e64 v0, -v20, v20, s5
	v_cndmask_b32_e64 v20, -v6, v6, s5
	v_add_f32_e32 v13, v13, v29
	ds_bpermute_b32 v29, v3, v7
	v_cndmask_b32_e64 v2, -v5, v5, s5
	v_cndmask_b32_e64 v1, -v21, v21, s5
	;; [unrolled: 1-line block ×3, first 2 shown]
	ds_bpermute_b32 v32, v3, v11
	s_wait_dscnt 0x7
	v_add_f32_e32 v7, v2, v27
	v_cndmask_b32_e64 v2, -v8, v8, s5
	v_cndmask_b32_e64 v8, -v10, v10, s5
	;; [unrolled: 1-line block ×3, first 2 shown]
	s_wait_dscnt 0x6
	v_add_f32_e32 v5, v0, v19
	v_add_f32_e32 v0, v20, v28
	ds_bpermute_b32 v19, v3, v13
	ds_bpermute_b32 v20, v3, v14
	;; [unrolled: 1-line block ×3, first 2 shown]
	s_wait_dscnt 0x5
	v_add_f32_e32 v6, v1, v26
	ds_bpermute_b32 v30, v3, v9
	ds_bpermute_b32 v26, v3, v18
	v_add_f32_e32 v2, v2, v25
	v_cndmask_b32_e64 v12, -v14, v14, s5
	s_wait_dscnt 0x6
	v_dual_add_f32 v1, v21, v29 :: v_dual_add_f32 v8, v8, v31
	ds_bpermute_b32 v21, v3, v15
	v_cndmask_b32_e64 v3, -v9, v9, s5
	v_cndmask_b32_e64 v9, -v11, v11, s5
	;; [unrolled: 1-line block ×6, first 2 shown]
	s_wait_dscnt 0x6
	v_dual_add_f32 v9, v9, v32 :: v_dual_add_f32 v10, v10, v33
	s_mul_u64 s[4:5], s[10:11], s[16:17]
	s_wait_dscnt 0x4
	v_dual_add_f32 v11, v11, v19 :: v_dual_add_f32 v12, v12, v20
	s_wait_dscnt 0x3
	v_add_f32_e32 v15, v15, v27
	s_wait_alu 0xfffe
	s_lshl_b64 s[4:5], s[4:5], 1
	s_wait_dscnt 0x2
	v_add_f32_e32 v3, v3, v30
	s_wait_dscnt 0x1
	v_add_f32_e32 v14, v14, v26
	s_wait_alu 0xfffe
	s_add_nc_u64 s[4:5], s[14:15], s[4:5]
	s_wait_dscnt 0x0
	v_add_f32_e32 v13, v13, v21
	ds_store_b128 v23, v[4:7]
	ds_store_b128 v23, v[0:3] offset:4096
	ds_store_b128 v23, v[8:11] offset:8192
	;; [unrolled: 1-line block ×3, first 2 shown]
	s_wait_loadcnt_dscnt 0x0
	s_barrier_signal -1
	s_barrier_wait -1
	global_inv scope:SCOPE_SE
	ds_load_b128 v[8:11], v22
	ds_load_b128 v[0:3], v22 offset:4096
	ds_load_b128 v[12:15], v22 offset:8192
	;; [unrolled: 1-line block ×3, first 2 shown]
	s_and_saveexec_b32 s3, s2
	s_cbranch_execnz .LBB35_7
; %bb.5:
	s_wait_alu 0xfffe
	s_or_b32 exec_lo, exec_lo, s3
	s_and_saveexec_b32 s0, vcc_lo
	s_cbranch_execnz .LBB35_8
.LBB35_6:
	s_endpgm
.LBB35_7:
	s_wait_dscnt 0x0
	v_dual_add_f32 v18, v3, v7 :: v_dual_add_f32 v19, v2, v6
	v_dual_add_f32 v20, v1, v5 :: v_dual_add_f32 v21, v0, v4
	;; [unrolled: 1-line block ×3, first 2 shown]
	s_wait_kmcnt 0x0
	s_delay_alu instid0(VALU_DEP_3) | instskip(NEXT) | instid1(VALU_DEP_3)
	v_dual_mul_f32 v18, s1, v18 :: v_dual_mul_f32 v19, s1, v19
	v_dual_mul_f32 v20, s1, v20 :: v_dual_mul_f32 v21, s1, v21
	s_delay_alu instid0(VALU_DEP_3) | instskip(NEXT) | instid1(VALU_DEP_3)
	v_mul_f32_e32 v22, s1, v22
	v_bfe_u32 v26, v18, 16, 1
	s_delay_alu instid0(VALU_DEP_4)
	v_bfe_u32 v27, v19, 16, 1
	v_or_b32_e32 v28, 0x400000, v18
	v_cmp_u_f32_e64 s0, v18, v18
	v_or_b32_e32 v29, 0x400000, v19
	v_add3_u32 v26, v26, v18, 0x7fff
	v_bfe_u32 v30, v20, 16, 1
	v_add3_u32 v27, v27, v19, 0x7fff
	v_dual_add_f32 v24, v9, v13 :: v_dual_add_f32 v25, v8, v12
	s_wait_alu 0xf1ff
	v_cndmask_b32_e64 v18, v26, v28, s0
	v_cmp_u_f32_e64 s0, v19, v19
	v_bfe_u32 v26, v21, 16, 1
	v_or_b32_e32 v28, 0x400000, v20
	v_mul_f32_e32 v25, s1, v25
	s_wait_alu 0xf1ff
	v_cndmask_b32_e64 v19, v27, v29, s0
	v_add3_u32 v27, v30, v20, 0x7fff
	v_cmp_u_f32_e64 s0, v20, v20
	v_add3_u32 v26, v26, v21, 0x7fff
	v_or_b32_e32 v29, 0x400000, v21
	v_or_b32_e32 v31, 0x400000, v25
	s_wait_alu 0xf1ff
	v_cndmask_b32_e64 v20, v27, v28, s0
	v_cmp_u_f32_e64 s0, v21, v21
	v_mul_f32_e32 v21, s1, v23
	v_bfe_u32 v27, v22, 16, 1
	v_mul_f32_e32 v23, s1, v24
	s_wait_alu 0xf1ff
	v_cndmask_b32_e64 v26, v26, v29, s0
	v_bfe_u32 v28, v21, 16, 1
	v_add3_u32 v24, v27, v22, 0x7fff
	v_or_b32_e32 v27, 0x400000, v22
	v_cmp_u_f32_e64 s0, v22, v22
	v_bfe_u32 v29, v23, 16, 1
	v_or_b32_e32 v30, 0x400000, v23
	v_perm_b32 v20, v20, v26, 0x7060302
	s_wait_alu 0xf1ff
	v_cndmask_b32_e64 v22, v24, v27, s0
	v_add3_u32 v27, v28, v21, 0x7fff
	v_or_b32_e32 v28, 0x400000, v21
	v_cmp_u_f32_e64 s0, v21, v21
	v_bfe_u32 v24, v25, 16, 1
	v_add3_u32 v29, v29, v23, 0x7fff
	v_perm_b32 v21, v18, v19, 0x7060302
	s_wait_alu 0xf1ff
	v_cndmask_b32_e64 v27, v27, v28, s0
	v_cmp_u_f32_e64 s0, v23, v23
	v_add3_u32 v24, v24, v25, 0x7fff
	s_delay_alu instid0(VALU_DEP_3) | instskip(SKIP_1) | instid1(VALU_DEP_3)
	v_perm_b32 v19, v22, v27, 0x7060302
	s_wait_alu 0xf1ff
	v_cndmask_b32_e64 v23, v29, v30, s0
	v_cmp_u_f32_e64 s0, v25, v25
	s_wait_alu 0xf1ff
	s_delay_alu instid0(VALU_DEP_1) | instskip(NEXT) | instid1(VALU_DEP_1)
	v_cndmask_b32_e64 v24, v24, v31, s0
	v_perm_b32 v18, v23, v24, 0x7060302
	global_store_b128 v17, v[18:21], s[4:5]
	s_wait_alu 0xfffe
	s_or_b32 exec_lo, exec_lo, s3
	s_and_saveexec_b32 s0, vcc_lo
	s_cbranch_execz .LBB35_6
.LBB35_8:
	s_wait_dscnt 0x1
	v_dual_sub_f32 v8, v8, v12 :: v_dual_sub_f32 v9, v9, v13
	v_dual_sub_f32 v11, v11, v15 :: v_dual_sub_f32 v10, v10, v14
	s_wait_dscnt 0x0
	v_dual_sub_f32 v0, v0, v4 :: v_dual_sub_f32 v1, v1, v5
	s_wait_kmcnt 0x0
	v_mul_f32_e32 v8, s1, v8
	v_dual_mul_f32 v4, s1, v9 :: v_dual_sub_f32 v3, v3, v7
	v_dual_mul_f32 v9, s1, v11 :: v_dual_mul_f32 v10, s1, v10
	v_mul_f32_e32 v1, s1, v1
	s_delay_alu instid0(VALU_DEP_4)
	v_bfe_u32 v11, v8, 16, 1
	v_or_b32_e32 v12, 0x400000, v8
	v_cmp_u_f32_e32 vcc_lo, v8, v8
	v_bfe_u32 v15, v10, 16, 1
	v_or_b32_e32 v17, 0x400000, v10
	v_add3_u32 v11, v11, v8, 0x7fff
	v_bfe_u32 v18, v9, 16, 1
	v_sub_f32_e32 v2, v2, v6
	v_add3_u32 v15, v15, v10, 0x7fff
	s_delay_alu instid0(VALU_DEP_4)
	v_dual_mul_f32 v3, s1, v3 :: v_dual_cndmask_b32 v8, v11, v12
	v_cmp_u_f32_e32 vcc_lo, v10, v10
	v_add3_u32 v11, v18, v9, 0x7fff
	v_or_b32_e32 v12, 0x400000, v9
	v_mul_f32_e32 v2, s1, v2
	v_bfe_u32 v13, v4, 16, 1
	s_wait_alu 0xfffd
	v_cndmask_b32_e32 v10, v15, v17, vcc_lo
	v_or_b32_e32 v15, 0x400000, v1
	v_mul_f32_e32 v0, s1, v0
	v_cmp_u_f32_e32 vcc_lo, v9, v9
	v_bfe_u32 v9, v1, 16, 1
	v_or_b32_e32 v14, 0x400000, v4
	v_add3_u32 v13, v13, v4, 0x7fff
	v_bfe_u32 v5, v0, 16, 1
	s_wait_alu 0xfffd
	v_cndmask_b32_e32 v6, v11, v12, vcc_lo
	v_or_b32_e32 v7, 0x400000, v0
	v_bfe_u32 v11, v2, 16, 1
	v_cmp_u_f32_e32 vcc_lo, v0, v0
	v_add3_u32 v5, v5, v0, 0x7fff
	v_bfe_u32 v12, v3, 16, 1
	s_wait_alu 0xfffd
	s_delay_alu instid0(VALU_DEP_2)
	v_cndmask_b32_e32 v0, v5, v7, vcc_lo
	v_add3_u32 v5, v9, v1, 0x7fff
	v_add3_u32 v7, v11, v2, 0x7fff
	v_or_b32_e32 v9, 0x400000, v2
	v_cmp_u_f32_e32 vcc_lo, v2, v2
	v_add3_u32 v11, v12, v3, 0x7fff
	v_or_b32_e32 v12, 0x400000, v3
	s_wait_alu 0xfffd
	v_cndmask_b32_e32 v2, v7, v9, vcc_lo
	v_cmp_u_f32_e32 vcc_lo, v3, v3
	s_wait_alu 0xfffd
	v_cndmask_b32_e32 v3, v11, v12, vcc_lo
	v_cmp_u_f32_e32 vcc_lo, v1, v1
	s_delay_alu instid0(VALU_DEP_2) | instskip(SKIP_3) | instid1(VALU_DEP_2)
	v_perm_b32 v3, v3, v2, 0x7060302
	s_wait_alu 0xfffd
	v_cndmask_b32_e32 v1, v5, v15, vcc_lo
	v_cmp_u_f32_e32 vcc_lo, v4, v4
	v_perm_b32 v2, v1, v0, 0x7060302
	s_wait_alu 0xfffd
	v_cndmask_b32_e32 v4, v13, v14, vcc_lo
	v_perm_b32 v1, v6, v10, 0x7060302
	s_delay_alu instid0(VALU_DEP_2)
	v_perm_b32 v0, v4, v8, 0x7060302
	global_store_b128 v16, v[0:3], s[4:5]
	s_endpgm
	.section	.rodata,"a",@progbits
	.p2align	6, 0x0
	.amdhsa_kernel _Z30fast_hadamard_transform_kernelI37fast_hadamard_transform_kernel_traitsILi256ELi12E14__hip_bfloat16EEv18HadamardParamsBase
		.amdhsa_group_segment_fixed_size 0
		.amdhsa_private_segment_fixed_size 0
		.amdhsa_kernarg_size 312
		.amdhsa_user_sgpr_count 2
		.amdhsa_user_sgpr_dispatch_ptr 0
		.amdhsa_user_sgpr_queue_ptr 0
		.amdhsa_user_sgpr_kernarg_segment_ptr 1
		.amdhsa_user_sgpr_dispatch_id 0
		.amdhsa_user_sgpr_private_segment_size 0
		.amdhsa_wavefront_size32 1
		.amdhsa_uses_dynamic_stack 0
		.amdhsa_enable_private_segment 0
		.amdhsa_system_sgpr_workgroup_id_x 1
		.amdhsa_system_sgpr_workgroup_id_y 0
		.amdhsa_system_sgpr_workgroup_id_z 0
		.amdhsa_system_sgpr_workgroup_info 0
		.amdhsa_system_vgpr_workitem_id 0
		.amdhsa_next_free_vgpr 34
		.amdhsa_next_free_sgpr 18
		.amdhsa_reserve_vcc 1
		.amdhsa_float_round_mode_32 0
		.amdhsa_float_round_mode_16_64 0
		.amdhsa_float_denorm_mode_32 3
		.amdhsa_float_denorm_mode_16_64 3
		.amdhsa_fp16_overflow 0
		.amdhsa_workgroup_processor_mode 1
		.amdhsa_memory_ordered 1
		.amdhsa_forward_progress 1
		.amdhsa_inst_pref_size 40
		.amdhsa_round_robin_scheduling 0
		.amdhsa_exception_fp_ieee_invalid_op 0
		.amdhsa_exception_fp_denorm_src 0
		.amdhsa_exception_fp_ieee_div_zero 0
		.amdhsa_exception_fp_ieee_overflow 0
		.amdhsa_exception_fp_ieee_underflow 0
		.amdhsa_exception_fp_ieee_inexact 0
		.amdhsa_exception_int_div_zero 0
	.end_amdhsa_kernel
	.section	.text._Z30fast_hadamard_transform_kernelI37fast_hadamard_transform_kernel_traitsILi256ELi12E14__hip_bfloat16EEv18HadamardParamsBase,"axG",@progbits,_Z30fast_hadamard_transform_kernelI37fast_hadamard_transform_kernel_traitsILi256ELi12E14__hip_bfloat16EEv18HadamardParamsBase,comdat
.Lfunc_end35:
	.size	_Z30fast_hadamard_transform_kernelI37fast_hadamard_transform_kernel_traitsILi256ELi12E14__hip_bfloat16EEv18HadamardParamsBase, .Lfunc_end35-_Z30fast_hadamard_transform_kernelI37fast_hadamard_transform_kernel_traitsILi256ELi12E14__hip_bfloat16EEv18HadamardParamsBase
                                        ; -- End function
	.set _Z30fast_hadamard_transform_kernelI37fast_hadamard_transform_kernel_traitsILi256ELi12E14__hip_bfloat16EEv18HadamardParamsBase.num_vgpr, 34
	.set _Z30fast_hadamard_transform_kernelI37fast_hadamard_transform_kernel_traitsILi256ELi12E14__hip_bfloat16EEv18HadamardParamsBase.num_agpr, 0
	.set _Z30fast_hadamard_transform_kernelI37fast_hadamard_transform_kernel_traitsILi256ELi12E14__hip_bfloat16EEv18HadamardParamsBase.numbered_sgpr, 18
	.set _Z30fast_hadamard_transform_kernelI37fast_hadamard_transform_kernel_traitsILi256ELi12E14__hip_bfloat16EEv18HadamardParamsBase.num_named_barrier, 0
	.set _Z30fast_hadamard_transform_kernelI37fast_hadamard_transform_kernel_traitsILi256ELi12E14__hip_bfloat16EEv18HadamardParamsBase.private_seg_size, 0
	.set _Z30fast_hadamard_transform_kernelI37fast_hadamard_transform_kernel_traitsILi256ELi12E14__hip_bfloat16EEv18HadamardParamsBase.uses_vcc, 1
	.set _Z30fast_hadamard_transform_kernelI37fast_hadamard_transform_kernel_traitsILi256ELi12E14__hip_bfloat16EEv18HadamardParamsBase.uses_flat_scratch, 0
	.set _Z30fast_hadamard_transform_kernelI37fast_hadamard_transform_kernel_traitsILi256ELi12E14__hip_bfloat16EEv18HadamardParamsBase.has_dyn_sized_stack, 0
	.set _Z30fast_hadamard_transform_kernelI37fast_hadamard_transform_kernel_traitsILi256ELi12E14__hip_bfloat16EEv18HadamardParamsBase.has_recursion, 0
	.set _Z30fast_hadamard_transform_kernelI37fast_hadamard_transform_kernel_traitsILi256ELi12E14__hip_bfloat16EEv18HadamardParamsBase.has_indirect_call, 0
	.section	.AMDGPU.csdata,"",@progbits
; Kernel info:
; codeLenInByte = 5000
; TotalNumSgprs: 20
; NumVgprs: 34
; ScratchSize: 0
; MemoryBound: 0
; FloatMode: 240
; IeeeMode: 1
; LDSByteSize: 0 bytes/workgroup (compile time only)
; SGPRBlocks: 0
; VGPRBlocks: 4
; NumSGPRsForWavesPerEU: 20
; NumVGPRsForWavesPerEU: 34
; Occupancy: 16
; WaveLimiterHint : 0
; COMPUTE_PGM_RSRC2:SCRATCH_EN: 0
; COMPUTE_PGM_RSRC2:USER_SGPR: 2
; COMPUTE_PGM_RSRC2:TRAP_HANDLER: 0
; COMPUTE_PGM_RSRC2:TGID_X_EN: 1
; COMPUTE_PGM_RSRC2:TGID_Y_EN: 0
; COMPUTE_PGM_RSRC2:TGID_Z_EN: 0
; COMPUTE_PGM_RSRC2:TIDIG_COMP_CNT: 0
	.section	.text._Z30fast_hadamard_transform_kernelI37fast_hadamard_transform_kernel_traitsILi256ELi13E14__hip_bfloat16EEv18HadamardParamsBase,"axG",@progbits,_Z30fast_hadamard_transform_kernelI37fast_hadamard_transform_kernel_traitsILi256ELi13E14__hip_bfloat16EEv18HadamardParamsBase,comdat
	.protected	_Z30fast_hadamard_transform_kernelI37fast_hadamard_transform_kernel_traitsILi256ELi13E14__hip_bfloat16EEv18HadamardParamsBase ; -- Begin function _Z30fast_hadamard_transform_kernelI37fast_hadamard_transform_kernel_traitsILi256ELi13E14__hip_bfloat16EEv18HadamardParamsBase
	.globl	_Z30fast_hadamard_transform_kernelI37fast_hadamard_transform_kernel_traitsILi256ELi13E14__hip_bfloat16EEv18HadamardParamsBase
	.p2align	8
	.type	_Z30fast_hadamard_transform_kernelI37fast_hadamard_transform_kernel_traitsILi256ELi13E14__hip_bfloat16EEv18HadamardParamsBase,@function
_Z30fast_hadamard_transform_kernelI37fast_hadamard_transform_kernel_traitsILi256ELi13E14__hip_bfloat16EEv18HadamardParamsBase: ; @_Z30fast_hadamard_transform_kernelI37fast_hadamard_transform_kernel_traitsILi256ELi13E14__hip_bfloat16EEv18HadamardParamsBase
; %bb.0:
	s_clause 0x3
	s_load_b128 s[12:15], s[0:1], 0x10
	s_load_b32 s5, s[0:1], 0x4
	s_load_b128 s[8:11], s[0:1], 0x28
	s_load_b32 s2, s[0:1], 0x44
	v_dual_mov_b32 v5, 0 :: v_dual_lshlrev_b32 v8, 3, v0
	s_mov_b32 s16, ttmp9
	s_ashr_i32 s17, ttmp9, 31
	v_dual_mov_b32 v1, 0 :: v_dual_mov_b32 v2, 0
	v_dual_mov_b32 v3, 0 :: v_dual_mov_b32 v4, 0
	;; [unrolled: 1-line block ×3, first 2 shown]
	v_lshlrev_b32_e32 v35, 4, v0
	v_mov_b32_e32 v9, 0
	s_wait_kmcnt 0x0
	s_mul_u64 s[6:7], s[12:13], s[16:17]
	v_cmp_gt_u32_e64 s4, s5, v8
	v_mov_b32_e32 v8, 0
	s_lshl_b64 s[6:7], s[6:7], 1
	s_delay_alu instid0(SALU_CYCLE_1)
	s_add_nc_u64 s[6:7], s[8:9], s[6:7]
	s_and_saveexec_b32 s3, s4
	s_cbranch_execz .LBB36_2
; %bb.1:
	global_load_b128 v[10:13], v35, s[6:7]
	s_wait_loadcnt 0x0
	v_lshlrev_b32_e32 v9, 16, v10
	v_and_b32_e32 v8, 0xffff0000, v10
	v_lshlrev_b32_e32 v7, 16, v11
	v_and_b32_e32 v6, 0xffff0000, v11
	;; [unrolled: 2-line block ×4, first 2 shown]
.LBB36_2:
	s_or_b32 exec_lo, exec_lo, s3
	s_and_b32 s8, 0xffff, s2
	v_dual_mov_b32 v11, 0 :: v_dual_mov_b32 v12, 0
	v_dual_mov_b32 v10, 0 :: v_dual_add_nc_u32 v17, s8, v0
	v_dual_mov_b32 v14, 0 :: v_dual_mov_b32 v15, 0
	s_delay_alu instid0(VALU_DEP_2) | instskip(SKIP_1) | instid1(VALU_DEP_2)
	v_dual_mov_b32 v13, 0 :: v_dual_lshlrev_b32 v16, 3, v17
	v_lshlrev_b32_e32 v34, 4, v17
	v_cmp_gt_u32_e64 s3, s5, v16
	v_mov_b32_e32 v16, 0
	s_and_saveexec_b32 s2, s3
	s_cbranch_execz .LBB36_4
; %bb.3:
	global_load_b128 v[18:21], v34, s[6:7]
	s_wait_loadcnt 0x0
	v_lshlrev_b32_e32 v16, 16, v18
	v_and_b32_e32 v15, 0xffff0000, v18
	v_lshlrev_b32_e32 v14, 16, v19
	v_and_b32_e32 v13, 0xffff0000, v19
	;; [unrolled: 2-line block ×4, first 2 shown]
.LBB36_4:
	s_or_b32 exec_lo, exec_lo, s2
	v_dual_mov_b32 v17, 0 :: v_dual_add_nc_u32 v26, s8, v17
	v_dual_mov_b32 v18, 0 :: v_dual_mov_b32 v19, 0
	v_dual_mov_b32 v20, 0 :: v_dual_mov_b32 v21, 0
	s_delay_alu instid0(VALU_DEP_3) | instskip(SKIP_2) | instid1(VALU_DEP_3)
	v_dual_mov_b32 v23, 0 :: v_dual_lshlrev_b32 v24, 3, v26
	v_dual_mov_b32 v22, 0 :: v_dual_lshlrev_b32 v33, 4, v26
	v_mov_b32_e32 v25, 0
	v_cmp_gt_u32_e64 s2, s5, v24
	v_mov_b32_e32 v24, 0
	s_and_saveexec_b32 s9, s2
	s_cbranch_execz .LBB36_6
; %bb.5:
	global_load_b128 v[27:30], v33, s[6:7]
	s_wait_loadcnt 0x0
	v_lshlrev_b32_e32 v25, 16, v27
	v_and_b32_e32 v24, 0xffff0000, v27
	v_lshlrev_b32_e32 v23, 16, v28
	v_and_b32_e32 v22, 0xffff0000, v28
	v_lshlrev_b32_e32 v21, 16, v29
	v_and_b32_e32 v20, 0xffff0000, v29
	v_lshlrev_b32_e32 v19, 16, v30
	v_and_b32_e32 v18, 0xffff0000, v30
.LBB36_6:
	s_wait_alu 0xfffe
	s_or_b32 exec_lo, exec_lo, s9
	v_dual_mov_b32 v27, 0 :: v_dual_add_nc_u32 v32, s8, v26
	v_dual_mov_b32 v26, 0 :: v_dual_mov_b32 v29, 0
	v_dual_mov_b32 v28, 0 :: v_dual_mov_b32 v31, 0
	s_delay_alu instid0(VALU_DEP_3) | instskip(SKIP_2) | instid1(VALU_DEP_3)
	v_lshlrev_b32_e32 v36, 3, v32
	v_mov_b32_e32 v30, 0
	v_lshlrev_b32_e32 v32, 4, v32
	v_cmp_gt_u32_e32 vcc_lo, s5, v36
	v_mov_b32_e32 v36, 0
	s_and_saveexec_b32 s5, vcc_lo
	s_cbranch_execz .LBB36_8
; %bb.7:
	global_load_b128 v[37:40], v32, s[6:7]
	s_wait_loadcnt 0x0
	v_lshlrev_b32_e32 v36, 16, v37
	v_and_b32_e32 v31, 0xffff0000, v37
	v_lshlrev_b32_e32 v30, 16, v38
	v_and_b32_e32 v29, 0xffff0000, v38
	;; [unrolled: 2-line block ×4, first 2 shown]
.LBB36_8:
	s_wait_alu 0xfffe
	s_or_b32 exec_lo, exec_lo, s5
	v_dual_add_f32 v37, v8, v9 :: v_dual_sub_f32 v8, v9, v8
	v_add_f32_e32 v9, v15, v16
	v_sub_f32_e32 v15, v16, v15
	v_add_f32_e32 v16, v24, v25
	v_sub_f32_e32 v24, v25, v24
	;; [unrolled: 2-line block ×15, first 2 shown]
	v_add_f32_e32 v26, v36, v37
	v_dual_sub_f32 v36, v37, v36 :: v_dual_add_f32 v37, v7, v9
	v_sub_f32_e32 v7, v9, v7
	v_dual_add_f32 v9, v14, v16 :: v_dual_sub_f32 v14, v16, v14
	v_dual_add_f32 v16, v23, v25 :: v_dual_sub_f32 v23, v25, v23
	;; [unrolled: 1-line block ×16, first 2 shown]
	v_add_f32_e32 v37, v5, v9
	v_sub_f32_e32 v5, v9, v5
	v_add_f32_e32 v9, v12, v16
	v_sub_f32_e32 v12, v16, v12
	;; [unrolled: 2-line block ×3, first 2 shown]
	v_dual_add_f32 v25, v4, v8 :: v_dual_add_f32 v38, v1, v15
	v_sub_f32_e32 v8, v8, v4
	v_mbcnt_lo_u32_b32 v4, -1, 0
	v_sub_f32_e32 v15, v15, v1
	v_add_f32_e32 v39, v20, v24
	v_sub_f32_e32 v20, v24, v20
	v_add_f32_e32 v24, v28, v36
	v_xor_b32_e32 v1, 1, v4
	v_sub_f32_e32 v28, v36, v28
	v_add_f32_e32 v36, v3, v7
	v_sub_f32_e32 v3, v7, v3
	v_add_f32_e32 v7, v10, v14
	v_cmp_gt_i32_e64 s5, 32, v1
	v_sub_f32_e32 v10, v14, v10
	v_add_f32_e32 v14, v19, v23
	v_sub_f32_e32 v19, v23, v19
	v_add_f32_e32 v23, v2, v6
	v_sub_f32_e32 v2, v6, v2
	v_dual_add_f32 v6, v11, v13 :: v_dual_sub_f32 v11, v13, v11
	v_and_b32_e32 v13, 1, v0
	s_wait_alu 0xf1ff
	v_cndmask_b32_e64 v1, v4, v1, s5
	v_add_f32_e32 v45, v18, v22
	s_barrier_signal -1
	v_cmp_eq_u32_e64 s5, 0, v13
	v_dual_sub_f32 v13, v22, v18 :: v_dual_add_f32 v18, v17, v29
	s_barrier_wait -1
	global_inv scope:SCOPE_SE
	s_wait_alu 0xf1ff
	v_cndmask_b32_e64 v22, -v27, v27, s5
	v_lshlrev_b32_e32 v1, 2, v1
	s_load_b32 s1, s[0:1], 0x20
	ds_bpermute_b32 v40, v1, v27
	s_wait_dscnt 0x0
	v_add_f32_e32 v22, v22, v40
	ds_bpermute_b32 v41, v1, v16
	ds_bpermute_b32 v42, v1, v24
	;; [unrolled: 1-line block ×4, first 2 shown]
	v_cndmask_b32_e64 v26, -v26, v26, s5
	v_sub_f32_e32 v17, v29, v17
	ds_bpermute_b32 v27, v1, v21
	ds_bpermute_b32 v29, v1, v28
	;; [unrolled: 1-line block ×5, first 2 shown]
	v_cndmask_b32_e64 v16, -v16, v16, s5
	v_cndmask_b32_e64 v24, -v24, v24, s5
	;; [unrolled: 1-line block ×7, first 2 shown]
	ds_bpermute_b32 v48, v1, v25
	v_cndmask_b32_e64 v25, -v25, v25, s5
	s_wait_dscnt 0x9
	v_add_f32_e32 v16, v16, v41
	s_wait_dscnt 0x7
	v_dual_add_f32 v24, v24, v42 :: v_dual_add_f32 v23, v23, v43
	ds_bpermute_b32 v41, v1, v6
	ds_bpermute_b32 v42, v1, v30
	ds_bpermute_b32 v43, v1, v8
	s_wait_dscnt 0x8
	v_add_f32_e32 v21, v21, v27
	v_cndmask_b32_e64 v6, -v6, v6, s5
	v_cndmask_b32_e64 v30, -v30, v30, s5
	s_wait_dscnt 0x6
	v_dual_add_f32 v27, v28, v29 :: v_dual_add_f32 v28, v2, v46
	s_wait_dscnt 0x5
	v_add_f32_e32 v29, v31, v47
	v_cndmask_b32_e64 v2, -v36, v36, s5
	ds_bpermute_b32 v31, v1, v11
	ds_bpermute_b32 v36, v1, v37
	;; [unrolled: 1-line block ×3, first 2 shown]
	v_cndmask_b32_e64 v8, -v8, v8, s5
	s_wait_dscnt 0x7
	v_add_f32_e32 v40, v2, v40
	v_cndmask_b32_e64 v2, -v11, v11, s5
	v_cndmask_b32_e64 v11, -v37, v37, s5
	;; [unrolled: 1-line block ×3, first 2 shown]
	ds_bpermute_b32 v38, v1, v5
	v_add_f32_e32 v26, v26, v44
	ds_bpermute_b32 v44, v1, v3
	s_wait_dscnt 0x7
	v_add_f32_e32 v6, v6, v41
	s_wait_dscnt 0x5
	v_add_f32_e32 v8, v8, v43
	ds_bpermute_b32 v41, v1, v15
	ds_bpermute_b32 v47, v1, v7
	v_cndmask_b32_e64 v3, -v3, v3, s5
	v_add_f32_e32 v30, v30, v42
	ds_bpermute_b32 v42, v1, v10
	v_cndmask_b32_e64 v10, -v10, v10, s5
	v_cndmask_b32_e64 v7, -v7, v7, s5
	s_wait_dscnt 0x7
	v_add_f32_e32 v31, v2, v31
	v_cndmask_b32_e64 v2, -v5, v5, s5
	v_add_f32_e32 v25, v25, v48
	ds_bpermute_b32 v48, v1, v45
	v_cndmask_b32_e64 v5, -v15, v15, s5
	ds_bpermute_b32 v15, v1, v39
	v_cndmask_b32_e64 v45, -v45, v45, s5
	s_wait_dscnt 0x6
	v_dual_add_f32 v11, v11, v36 :: v_dual_add_f32 v38, v2, v38
	v_cndmask_b32_e64 v2, -v39, v39, s5
	v_xor_b32_e32 v39, 2, v4
	s_wait_dscnt 0x5
	v_dual_add_f32 v3, v3, v44 :: v_dual_add_f32 v36, v37, v46
	ds_bpermute_b32 v46, v1, v18
	v_cndmask_b32_e64 v18, -v18, v18, s5
	v_cmp_gt_i32_e64 s6, 32, v39
	ds_bpermute_b32 v44, v1, v9
	s_wait_dscnt 0x4
	v_add_f32_e32 v10, v10, v42
	ds_bpermute_b32 v42, v1, v20
	v_cndmask_b32_e64 v9, -v9, v9, s5
	v_cndmask_b32_e64 v39, v4, v39, s6
	v_cndmask_b32_e64 v20, -v20, v20, s5
	v_add_f32_e32 v5, v5, v41
	s_wait_dscnt 0x4
	v_add_f32_e32 v37, v45, v48
	ds_bpermute_b32 v45, v1, v14
	s_wait_dscnt 0x4
	v_add_f32_e32 v15, v2, v15
	v_lshlrev_b32_e32 v2, 2, v39
	ds_bpermute_b32 v43, v1, v13
	v_cndmask_b32_e64 v14, -v14, v14, s5
	v_add_f32_e32 v7, v7, v47
	v_cndmask_b32_e64 v13, -v13, v13, s5
	ds_bpermute_b32 v47, v2, v24
	v_and_b32_e32 v39, 2, v0
	ds_bpermute_b32 v49, v2, v26
	ds_bpermute_b32 v41, v1, v12
	ds_bpermute_b32 v48, v2, v23
	s_wait_dscnt 0x8
	v_add_f32_e32 v18, v18, v46
	v_cmp_eq_u32_e64 s6, 0, v39
	ds_bpermute_b32 v39, v2, v21
	ds_bpermute_b32 v46, v2, v16
	s_wait_dscnt 0x8
	v_add_f32_e32 v20, v20, v42
	ds_bpermute_b32 v42, v2, v28
	s_wait_alu 0xf1ff
	v_cndmask_b32_e64 v26, -v26, v26, s6
	v_cndmask_b32_e64 v16, -v16, v16, s6
	s_wait_dscnt 0x8
	v_add_f32_e32 v14, v14, v45
	ds_bpermute_b32 v45, v2, v22
	v_cndmask_b32_e64 v22, -v22, v22, s6
	s_wait_dscnt 0x8
	v_add_f32_e32 v13, v13, v43
	ds_bpermute_b32 v43, v1, v19
	v_cndmask_b32_e64 v19, -v19, v19, s5
	v_add_f32_e32 v9, v9, v44
	ds_bpermute_b32 v44, v1, v17
	v_cndmask_b32_e64 v12, -v12, v12, s5
	s_wait_dscnt 0x8
	v_add_f32_e32 v26, v26, v49
	ds_bpermute_b32 v49, v2, v3
	v_cndmask_b32_e64 v24, -v24, v24, s6
	v_cndmask_b32_e64 v23, -v23, v23, s6
	;; [unrolled: 1-line block ×4, first 2 shown]
	s_wait_dscnt 0x8
	v_add_f32_e32 v12, v12, v41
	v_add_f32_e32 v24, v24, v47
	v_cndmask_b32_e64 v28, -v28, v28, s6
	ds_bpermute_b32 v47, v2, v30
	v_cndmask_b32_e64 v30, -v30, v30, s6
	s_wait_dscnt 0x4
	v_dual_add_f32 v23, v23, v48 :: v_dual_add_f32 v22, v22, v45
	ds_bpermute_b32 v45, v2, v40
	ds_bpermute_b32 v48, v2, v8
	s_wait_dscnt 0x5
	v_add_f32_e32 v19, v19, v43
	ds_bpermute_b32 v43, v2, v29
	v_cndmask_b32_e64 v8, -v8, v8, s6
	v_add_f32_e32 v21, v21, v39
	v_cndmask_b32_e64 v39, -v40, v40, s6
	v_cndmask_b32_e64 v3, -v3, v3, s6
	ds_bpermute_b32 v40, v2, v31
	ds_bpermute_b32 v41, v2, v27
	v_add_f32_e32 v16, v16, v46
	ds_bpermute_b32 v46, v2, v6
	v_add_f32_e32 v28, v28, v42
	v_cndmask_b32_e64 v6, -v6, v6, s6
	s_wait_dscnt 0x8
	v_add_f32_e32 v17, v17, v44
	ds_bpermute_b32 v44, v2, v25
	ds_bpermute_b32 v42, v2, v36
	v_cndmask_b32_e64 v29, -v29, v29, s6
	v_cndmask_b32_e64 v27, -v27, v27, s6
	;; [unrolled: 1-line block ×3, first 2 shown]
	s_wait_dscnt 0x7
	v_add_f32_e32 v39, v39, v45
	v_add_f32_e32 v45, v3, v49
	v_cndmask_b32_e64 v3, -v31, v31, s6
	v_cndmask_b32_e64 v31, -v36, v36, s6
	ds_bpermute_b32 v36, v2, v38
	s_wait_dscnt 0x6
	v_add_f32_e32 v29, v29, v43
	v_add_f32_e32 v30, v30, v47
	ds_bpermute_b32 v47, v2, v10
	s_wait_dscnt 0x6
	v_add_f32_e32 v40, v3, v40
	v_cndmask_b32_e64 v3, -v38, v38, s6
	ds_bpermute_b32 v38, v2, v15
	s_wait_dscnt 0x5
	v_add_f32_e32 v6, v6, v46
	ds_bpermute_b32 v46, v2, v5
	v_cndmask_b32_e64 v5, -v5, v5, s6
	v_cndmask_b32_e64 v10, -v10, v10, s6
	v_add_f32_e32 v27, v27, v41
	ds_bpermute_b32 v41, v2, v11
	s_wait_dscnt 0x5
	v_add_f32_e32 v31, v31, v42
	ds_bpermute_b32 v42, v2, v18
	v_cndmask_b32_e64 v11, -v11, v11, s6
	ds_bpermute_b32 v43, v2, v7
	v_cndmask_b32_e64 v7, -v7, v7, s6
	v_add_f32_e32 v8, v8, v48
	ds_bpermute_b32 v48, v2, v13
	s_wait_dscnt 0x7
	v_add_f32_e32 v36, v3, v36
	v_cndmask_b32_e64 v3, -v15, v15, s6
	v_add_f32_e32 v25, v25, v44
	ds_bpermute_b32 v44, v2, v37
	v_cndmask_b32_e64 v15, -v18, v18, s6
	v_xor_b32_e32 v18, 4, v4
	v_cndmask_b32_e64 v37, -v37, v37, s6
	s_wait_dscnt 0x6
	v_add_f32_e32 v38, v3, v38
	v_cndmask_b32_e64 v13, -v13, v13, s6
	ds_bpermute_b32 v49, v2, v9
	v_cmp_gt_i32_e64 s7, 32, v18
	v_add_f32_e32 v10, v10, v47
	v_cndmask_b32_e64 v9, -v9, v9, s6
	s_wait_dscnt 0x6
	v_add_f32_e32 v5, v5, v46
	s_wait_dscnt 0x4
	v_add_f32_e32 v15, v15, v42
	s_wait_alu 0xf1ff
	v_cndmask_b32_e64 v18, v4, v18, s7
	ds_bpermute_b32 v46, v2, v19
	v_cndmask_b32_e64 v19, -v19, v19, s6
	ds_bpermute_b32 v47, v2, v17
	v_cndmask_b32_e64 v17, -v17, v17, s6
	v_lshlrev_b32_e32 v3, 2, v18
	v_cndmask_b32_e64 v18, -v20, v20, s6
	ds_bpermute_b32 v42, v3, v16
	s_wait_dscnt 0x4
	v_add_f32_e32 v37, v37, v44
	ds_bpermute_b32 v44, v2, v20
	v_add_f32_e32 v11, v11, v41
	ds_bpermute_b32 v41, v2, v14
	v_and_b32_e32 v20, 4, v0
	v_cndmask_b32_e64 v14, -v14, v14, s6
	ds_bpermute_b32 v50, v3, v26
	v_add_f32_e32 v13, v13, v48
	ds_bpermute_b32 v48, v3, v24
	v_cmp_eq_u32_e64 s7, 0, v20
	s_wait_alu 0xf1ff
	s_delay_alu instid0(VALU_DEP_1) | instskip(SKIP_2) | instid1(VALU_DEP_1)
	v_cndmask_b32_e64 v20, -v22, v22, s7
	v_cndmask_b32_e64 v16, -v16, v16, s7
	s_wait_dscnt 0x4
	v_add_f32_e32 v16, v16, v42
	s_wait_dscnt 0x3
	v_add_f32_e32 v18, v18, v44
	;; [unrolled: 2-line block ×3, first 2 shown]
	ds_bpermute_b32 v41, v3, v22
	v_add_f32_e32 v7, v7, v43
	ds_bpermute_b32 v43, v2, v12
	v_cndmask_b32_e64 v12, -v12, v12, s6
	v_cndmask_b32_e64 v22, -v24, v24, s7
	;; [unrolled: 1-line block ×3, first 2 shown]
	ds_bpermute_b32 v26, v3, v21
	v_cndmask_b32_e64 v21, -v21, v21, s7
	s_wait_dscnt 0x3
	v_dual_add_f32 v9, v9, v49 :: v_dual_add_f32 v22, v22, v48
	v_add_f32_e32 v24, v24, v50
	s_wait_dscnt 0x2
	v_add_f32_e32 v20, v20, v41
	s_wait_dscnt 0x1
	v_add_f32_e32 v12, v12, v43
	ds_bpermute_b32 v43, v3, v27
	v_cndmask_b32_e64 v27, -v27, v27, s7
	s_wait_dscnt 0x0
	s_delay_alu instid0(VALU_DEP_1)
	v_dual_add_f32 v21, v21, v26 :: v_dual_add_f32 v26, v27, v43
	ds_bpermute_b32 v49, v3, v23
	v_cndmask_b32_e64 v23, -v23, v23, s7
	ds_bpermute_b32 v44, v3, v28
	ds_bpermute_b32 v43, v3, v40
	;; [unrolled: 1-line block ×4, first 2 shown]
	v_cndmask_b32_e64 v28, -v28, v28, s7
	v_cndmask_b32_e64 v40, -v40, v40, s7
	;; [unrolled: 1-line block ×3, first 2 shown]
	ds_bpermute_b32 v42, v3, v6
	v_cndmask_b32_e64 v6, -v6, v6, s7
	v_add_f32_e32 v17, v17, v47
	ds_bpermute_b32 v47, v3, v25
	v_cndmask_b32_e64 v25, -v25, v25, s7
	ds_bpermute_b32 v50, v3, v45
	s_wait_dscnt 0x7
	v_add_f32_e32 v23, v23, v49
	ds_bpermute_b32 v49, v3, v8
	v_cndmask_b32_e64 v8, -v8, v8, s7
	v_add_f32_e32 v19, v19, v46
	ds_bpermute_b32 v46, v3, v29
	v_cndmask_b32_e64 v29, -v29, v29, s7
	s_wait_dscnt 0x7
	v_add_f32_e32 v40, v40, v43
	ds_bpermute_b32 v43, v3, v38
	v_cndmask_b32_e64 v38, -v38, v38, s7
	v_add_f32_e32 v27, v28, v44
	s_wait_dscnt 0x6
	v_add_f32_e32 v30, v30, v48
	ds_bpermute_b32 v48, v3, v10
	v_cndmask_b32_e64 v10, -v10, v10, s7
	ds_bpermute_b32 v44, v3, v11
	s_wait_dscnt 0x7
	v_add_f32_e32 v6, v6, v42
	ds_bpermute_b32 v42, v3, v5
	v_cndmask_b32_e64 v11, -v11, v11, s7
	v_cndmask_b32_e64 v5, -v5, v5, s7
	s_wait_dscnt 0x5
	v_add_f32_e32 v8, v8, v49
	ds_bpermute_b32 v49, v3, v13
	v_cndmask_b32_e64 v13, -v13, v13, s7
	s_wait_dscnt 0x5
	v_add_f32_e32 v28, v29, v46
	v_cndmask_b32_e64 v29, -v39, v39, s7
	v_cndmask_b32_e64 v39, -v45, v45, s7
	s_wait_dscnt 0x4
	v_dual_add_f32 v38, v38, v43 :: v_dual_and_b32 v43, 8, v0
	ds_bpermute_b32 v45, v3, v31
	s_wait_dscnt 0x4
	v_dual_add_f32 v29, v29, v41 :: v_dual_add_f32 v10, v10, v48
	ds_bpermute_b32 v41, v3, v36
	v_cndmask_b32_e64 v36, -v36, v36, s7
	v_add_f32_e32 v25, v25, v47
	ds_bpermute_b32 v46, v3, v7
	v_cndmask_b32_e64 v31, -v31, v31, s7
	v_cndmask_b32_e64 v7, -v7, v7, s7
	ds_bpermute_b32 v47, v3, v37
	v_cndmask_b32_e64 v37, -v37, v37, s7
	ds_bpermute_b32 v48, v3, v17
	v_cndmask_b32_e64 v17, -v17, v17, s7
	s_wait_dscnt 0x3
	v_add_f32_e32 v36, v36, v41
	v_xor_b32_e32 v41, 8, v4
	s_delay_alu instid0(VALU_DEP_1) | instskip(SKIP_1) | instid1(VALU_DEP_1)
	v_cmp_gt_i32_e64 s8, 32, v41
	s_wait_alu 0xf1ff
	v_cndmask_b32_e64 v41, v4, v41, s8
	v_cmp_eq_u32_e64 s8, 0, v43
	s_delay_alu instid0(VALU_DEP_2)
	v_lshlrev_b32_e32 v41, 2, v41
	ds_bpermute_b32 v51, v41, v24
	s_wait_alu 0xf1ff
	v_cndmask_b32_e64 v24, -v24, v24, s8
	v_add_f32_e32 v13, v13, v49
	ds_bpermute_b32 v49, v41, v22
	v_cndmask_b32_e64 v22, -v22, v22, s8
	v_add_f32_e32 v5, v5, v42
	ds_bpermute_b32 v42, v3, v12
	;; [unrolled: 3-line block ×4, first 2 shown]
	v_cndmask_b32_e64 v9, -v9, v9, s7
	s_wait_dscnt 0x4
	v_add_f32_e32 v24, v24, v51
	s_wait_dscnt 0x3
	v_add_f32_e32 v22, v22, v49
	;; [unrolled: 2-line block ×3, first 2 shown]
	ds_bpermute_b32 v42, v41, v21
	v_cndmask_b32_e64 v21, -v21, v21, s8
	s_wait_dscnt 0x2
	v_add_f32_e32 v14, v14, v44
	ds_bpermute_b32 v44, v41, v20
	v_cndmask_b32_e64 v20, -v20, v20, s8
	v_add_f32_e32 v7, v7, v46
	ds_bpermute_b32 v46, v3, v18
	v_cndmask_b32_e64 v18, -v18, v18, s7
	;; [unrolled: 3-line block ×3, first 2 shown]
	s_wait_dscnt 0x3
	v_add_f32_e32 v21, v21, v42
	ds_bpermute_b32 v42, v41, v40
	s_wait_dscnt 0x3
	v_add_f32_e32 v20, v20, v44
	ds_bpermute_b32 v44, v41, v29
	v_cndmask_b32_e64 v29, -v29, v29, s8
	s_wait_dscnt 0x2
	v_dual_add_f32 v18, v18, v46 :: v_dual_add_f32 v15, v15, v45
	ds_bpermute_b32 v45, v41, v16
	v_cndmask_b32_e64 v16, -v16, v16, s8
	v_add_f32_e32 v37, v37, v47
	ds_bpermute_b32 v47, v3, v19
	v_cndmask_b32_e64 v19, -v19, v19, s7
	s_wait_dscnt 0x1
	v_dual_add_f32 v29, v29, v44 :: v_dual_add_f32 v16, v16, v45
	ds_bpermute_b32 v45, v41, v6
	v_cndmask_b32_e64 v6, -v6, v6, s8
	s_wait_dscnt 0x0
	s_delay_alu instid0(VALU_DEP_1) | instskip(SKIP_1) | instid1(VALU_DEP_1)
	v_add_f32_e32 v44, v6, v45
	v_cndmask_b32_e64 v6, -v40, v40, s8
	v_add_f32_e32 v42, v6, v42
	ds_bpermute_b32 v43, v41, v26
	ds_bpermute_b32 v46, v41, v27
	v_cndmask_b32_e64 v26, -v26, v26, s8
	v_add_f32_e32 v9, v9, v50
	ds_bpermute_b32 v50, v41, v23
	ds_bpermute_b32 v49, v41, v30
	v_cndmask_b32_e64 v30, -v30, v30, s8
	v_add_f32_e32 v19, v19, v47
	ds_bpermute_b32 v47, v41, v28
	v_cndmask_b32_e64 v23, -v23, v23, s8
	v_cndmask_b32_e64 v27, -v27, v27, s8
	;; [unrolled: 1-line block ×3, first 2 shown]
	ds_bpermute_b32 v51, v41, v39
	ds_bpermute_b32 v40, v41, v5
	v_cndmask_b32_e64 v6, -v36, v36, s8
	v_cndmask_b32_e64 v5, -v5, v5, s8
	;; [unrolled: 1-line block ×3, first 2 shown]
	s_wait_dscnt 0x5
	v_dual_add_f32 v26, v26, v43 :: v_dual_add_f32 v27, v27, v46
	ds_bpermute_b32 v46, v41, v31
	v_cndmask_b32_e64 v31, -v31, v31, s8
	s_wait_dscnt 0x5
	v_add_f32_e32 v23, v23, v50
	ds_bpermute_b32 v50, v41, v8
	v_cndmask_b32_e64 v8, -v8, v8, s8
	s_wait_dscnt 0x5
	v_add_f32_e32 v30, v30, v49
	s_wait_dscnt 0x4
	v_add_f32_e32 v28, v28, v47
	ds_bpermute_b32 v47, v41, v7
	v_cndmask_b32_e64 v7, -v7, v7, s8
	v_add_f32_e32 v17, v17, v48
	ds_bpermute_b32 v49, v41, v10
	s_wait_dscnt 0x4
	v_add_f32_e32 v40, v5, v40
	v_cndmask_b32_e64 v5, -v38, v38, s8
	ds_bpermute_b32 v48, v41, v25
	v_cndmask_b32_e64 v10, -v10, v10, s8
	ds_bpermute_b32 v43, v41, v11
	v_cndmask_b32_e64 v25, -v25, v25, s8
	s_wait_dscnt 0x5
	v_add_f32_e32 v31, v31, v46
	s_wait_dscnt 0x3
	v_add_f32_e32 v46, v7, v47
	ds_bpermute_b32 v7, v41, v38
	v_add_f32_e32 v45, v8, v50
	ds_bpermute_b32 v50, v41, v13
	v_cndmask_b32_e64 v13, -v13, v13, s8
	v_add_f32_e32 v39, v39, v51
	ds_bpermute_b32 v51, v41, v9
	v_cndmask_b32_e64 v9, -v9, v9, s8
	s_wait_dscnt 0x5
	v_add_f32_e32 v47, v10, v49
	v_cndmask_b32_e64 v8, -v11, v11, s8
	ds_bpermute_b32 v11, v41, v36
	ds_bpermute_b32 v10, v41, v12
	s_wait_dscnt 0x4
	v_add_f32_e32 v38, v5, v7
	v_cndmask_b32_e64 v7, -v12, v12, s8
	v_add_f32_e32 v25, v25, v48
	ds_bpermute_b32 v48, v41, v37
	v_cndmask_b32_e64 v37, -v37, v37, s8
	s_wait_dscnt 0x3
	v_add_f32_e32 v49, v9, v51
	v_xor_b32_e32 v9, 16, v4
	v_cndmask_b32_e64 v5, -v15, v15, s8
	s_wait_dscnt 0x2
	v_add_f32_e32 v36, v6, v11
	ds_bpermute_b32 v6, v41, v15
	v_cmp_gt_i32_e64 s9, 32, v9
	v_cndmask_b32_e64 v11, -v14, v14, s8
	s_wait_dscnt 0x2
	v_add_f32_e32 v52, v7, v10
	s_wait_alu 0xf1ff
	v_cndmask_b32_e64 v4, v4, v9, s9
	ds_bpermute_b32 v9, v41, v17
	v_lshlrev_b32_e32 v51, 2, v4
	v_cndmask_b32_e64 v4, -v18, v18, s8
	s_wait_dscnt 0x2
	v_add_f32_e32 v37, v37, v48
	v_add_f32_e32 v48, v13, v50
	ds_bpermute_b32 v13, v41, v18
	ds_bpermute_b32 v12, v51, v20
	v_add_f32_e32 v43, v8, v43
	ds_bpermute_b32 v8, v41, v14
	ds_bpermute_b32 v14, v41, v19
	;; [unrolled: 1-line block ×4, first 2 shown]
	s_wait_dscnt 0x7
	v_add_f32_e32 v41, v5, v6
	s_wait_dscnt 0x5
	v_add_f32_e32 v53, v4, v13
	v_cndmask_b32_e64 v4, -v17, v17, s8
	s_wait_dscnt 0x3
	v_add_f32_e32 v50, v11, v8
	v_cndmask_b32_e64 v8, -v19, v19, s8
	ds_bpermute_b32 v19, v51, v23
	v_and_b32_e32 v11, 16, v0
	v_add_f32_e32 v55, v4, v9
	s_wait_dscnt 0x3
	v_add_f32_e32 v54, v8, v14
	ds_bpermute_b32 v14, v51, v27
	v_cmp_eq_u32_e64 s9, 0, v11
	ds_bpermute_b32 v11, v51, v21
	s_wait_alu 0xf1ff
	v_cndmask_b32_e64 v5, -v20, v20, s9
	v_cndmask_b32_e64 v6, -v16, v16, s9
	;; [unrolled: 1-line block ×5, first 2 shown]
	s_wait_dscnt 0x4
	v_dual_add_f32 v4, v5, v12 :: v_dual_add_f32 v5, v6, v15
	s_wait_dscnt 0x3
	v_add_f32_e32 v6, v7, v18
	v_cndmask_b32_e64 v15, -v27, v27, s9
	s_wait_dscnt 0x2
	v_add_f32_e32 v7, v8, v19
	ds_bpermute_b32 v19, v51, v29
	v_cndmask_b32_e64 v8, -v24, v24, s9
	v_cndmask_b32_e64 v12, -v26, v26, s9
	v_cndmask_b32_e64 v17, -v28, v28, s9
	s_wait_dscnt 0x1
	v_add_f32_e32 v9, v9, v11
	v_add_f32_e32 v11, v15, v14
	v_cndmask_b32_e64 v14, -v29, v29, s9
	v_cndmask_b32_e64 v15, -v44, v44, s9
	s_wait_dscnt 0x0
	s_delay_alu instid0(VALU_DEP_2)
	v_add_f32_e32 v14, v14, v19
	ds_bpermute_b32 v10, v51, v24
	ds_bpermute_b32 v13, v51, v26
	;; [unrolled: 1-line block ×10, first 2 shown]
	v_cndmask_b32_e64 v19, -v42, v42, s9
	ds_bpermute_b32 v28, v51, v37
	v_cndmask_b32_e64 v44, -v52, v52, s9
	ds_bpermute_b32 v29, v51, v36
	s_wait_dscnt 0xb
	v_add_f32_e32 v8, v8, v10
	s_wait_dscnt 0xa
	v_add_f32_e32 v10, v12, v13
	v_cndmask_b32_e64 v13, -v25, v25, s9
	ds_bpermute_b32 v25, v51, v43
	s_wait_dscnt 0xa
	v_add_f32_e32 v12, v17, v16
	v_cndmask_b32_e64 v16, -v30, v30, s9
	ds_bpermute_b32 v26, v51, v31
	;; [unrolled: 4-line block ×3, first 2 shown]
	v_add_f32_e32 v13, v13, v18
	v_cndmask_b32_e64 v18, -v39, v39, s9
	ds_bpermute_b32 v39, v51, v48
	v_cndmask_b32_e64 v17, -v45, v45, s9
	s_wait_dscnt 0xa
	v_add_f32_e32 v16, v16, v21
	v_cndmask_b32_e64 v21, -v31, v31, s9
	ds_bpermute_b32 v30, v51, v40
	ds_bpermute_b32 v31, v51, v47
	s_wait_dscnt 0xa
	v_dual_add_f32 v18, v18, v23 :: v_dual_add_f32 v19, v19, v24
	v_cndmask_b32_e64 v23, -v37, v37, s9
	v_cndmask_b32_e64 v24, -v36, v36, s9
	ds_bpermute_b32 v36, v51, v49
	s_wait_dscnt 0x6
	v_add_f32_e32 v20, v20, v25
	v_cndmask_b32_e64 v25, -v40, v40, s9
	ds_bpermute_b32 v37, v51, v38
	ds_bpermute_b32 v40, v51, v50
	;; [unrolled: 1-line block ×3, first 2 shown]
	v_add_f32_e32 v17, v17, v22
	v_cndmask_b32_e64 v22, -v46, v46, s9
	s_wait_dscnt 0x8
	v_add_f32_e32 v21, v21, v26
	v_cndmask_b32_e64 v26, -v47, v47, s9
	v_add_f32_e32 v23, v23, v28
	v_cndmask_b32_e64 v28, -v49, v49, s9
	;; [unrolled: 2-line block ×3, first 2 shown]
	v_cndmask_b32_e64 v38, -v38, v38, s9
	v_cndmask_b32_e64 v41, -v41, v41, s9
	s_wait_dscnt 0x5
	v_dual_add_f32 v24, v24, v29 :: v_dual_add_f32 v25, v25, v30
	v_add_f32_e32 v27, v27, v39
	v_cndmask_b32_e64 v39, -v50, v50, s9
	s_wait_dscnt 0x4
	v_add_f32_e32 v26, v26, v31
	ds_bpermute_b32 v29, v51, v53
	ds_bpermute_b32 v30, v51, v54
	;; [unrolled: 1-line block ×3, first 2 shown]
	s_wait_dscnt 0x5
	v_dual_add_f32 v36, v28, v36 :: v_dual_add_f32 v37, v38, v37
	s_wait_dscnt 0x3
	v_dual_add_f32 v38, v39, v40 :: v_dual_add_f32 v39, v41, v42
	v_add_f32_e32 v40, v44, v43
	v_lshrrev_b32_e32 v28, 5, v0
	v_and_b32_e32 v44, 7, v0
	v_lshrrev_b32_e32 v41, 3, v0
	v_cndmask_b32_e64 v42, -v53, v53, s9
	v_cndmask_b32_e64 v43, -v54, v54, s9
	v_xor_b32_e32 v0, v28, v0
	v_cndmask_b32_e64 v45, -v55, v55, s9
	v_lshl_or_b32 v46, v44, 5, v41
	s_delay_alu instid0(VALU_DEP_3) | instskip(NEXT) | instid1(VALU_DEP_2)
	v_lshl_add_u32 v28, v0, 4, 0
	v_xor_b32_e32 v0, v46, v44
	s_wait_dscnt 0x1
	v_dual_add_f32 v41, v42, v29 :: v_dual_add_f32 v42, v43, v30
	s_wait_dscnt 0x0
	v_add_f32_e32 v43, v45, v31
	ds_store_b128 v28, v[4:7]
	ds_store_b128 v28, v[8:11] offset:4096
	ds_store_b128 v28, v[12:15] offset:8192
	;; [unrolled: 1-line block ×7, first 2 shown]
	v_lshl_add_u32 v0, v0, 4, 0
	s_wait_loadcnt_dscnt 0x0
	s_barrier_signal -1
	s_barrier_wait -1
	global_inv scope:SCOPE_SE
	ds_load_b128 v[4:7], v0
	ds_load_b128 v[8:11], v0 offset:4096
	ds_load_b128 v[12:15], v0 offset:8192
	;; [unrolled: 1-line block ×7, first 2 shown]
	s_wait_loadcnt_dscnt 0x0
	s_barrier_signal -1
	s_barrier_wait -1
	global_inv scope:SCOPE_SE
	ds_bpermute_b32 v29, v1, v4
	v_cndmask_b32_e64 v4, -v4, v4, s5
	ds_bpermute_b32 v30, v1, v5
	ds_bpermute_b32 v45, v1, v8
	;; [unrolled: 1-line block ×4, first 2 shown]
	v_cndmask_b32_e64 v5, -v5, v5, s5
	v_cndmask_b32_e64 v8, -v8, v8, s5
	;; [unrolled: 1-line block ×4, first 2 shown]
	ds_bpermute_b32 v31, v1, v6
	ds_bpermute_b32 v47, v1, v11
	v_cndmask_b32_e64 v6, -v6, v6, s5
	v_cndmask_b32_e64 v11, -v11, v11, s5
	ds_bpermute_b32 v44, v1, v7
	ds_bpermute_b32 v49, v1, v13
	v_cndmask_b32_e64 v7, -v7, v7, s5
	v_cndmask_b32_e64 v13, -v13, v13, s5
	ds_bpermute_b32 v50, v1, v14
	v_cndmask_b32_e64 v14, -v14, v14, s5
	s_wait_dscnt 0x9
	v_add_f32_e32 v4, v4, v29
	ds_bpermute_b32 v29, v1, v10
	v_cndmask_b32_e64 v10, -v10, v10, s5
	s_wait_dscnt 0x8
	v_add_f32_e32 v8, v8, v45
	ds_bpermute_b32 v45, v1, v18
	s_wait_dscnt 0x7
	v_add_f32_e32 v12, v12, v48
	ds_bpermute_b32 v48, v1, v22
	v_cndmask_b32_e64 v22, -v22, v22, s5
	v_add_f32_e32 v9, v9, v46
	ds_bpermute_b32 v46, v1, v19
	v_cndmask_b32_e64 v18, -v18, v18, s5
	v_cndmask_b32_e64 v19, -v19, v19, s5
	s_wait_dscnt 0x8
	v_add_f32_e32 v6, v6, v31
	ds_bpermute_b32 v31, v1, v16
	v_cndmask_b32_e64 v16, -v16, v16, s5
	s_wait_dscnt 0x5
	v_add_f32_e32 v14, v14, v50
	ds_bpermute_b32 v50, v1, v24
	;; [unrolled: 4-line block ×3, first 2 shown]
	v_cndmask_b32_e64 v20, -v20, v20, s5
	v_add_f32_e32 v5, v5, v30
	ds_bpermute_b32 v30, v1, v15
	v_cndmask_b32_e64 v15, -v15, v15, s5
	s_wait_dscnt 0x6
	v_add_f32_e32 v18, v18, v45
	ds_bpermute_b32 v45, v1, v36
	s_wait_dscnt 0x5
	v_add_f32_e32 v19, v19, v46
	ds_bpermute_b32 v46, v1, v37
	v_add_f32_e32 v22, v22, v48
	ds_bpermute_b32 v48, v1, v40
	s_wait_dscnt 0x6
	v_add_f32_e32 v16, v16, v31
	ds_bpermute_b32 v31, v1, v26
	v_cndmask_b32_e64 v26, -v26, v26, s5
	v_add_f32_e32 v7, v7, v44
	ds_bpermute_b32 v44, v1, v17
	v_cndmask_b32_e64 v17, -v17, v17, s5
	s_wait_dscnt 0x7
	v_add_f32_e32 v24, v24, v50
	ds_bpermute_b32 v50, v1, v42
	s_wait_dscnt 0x7
	v_add_f32_e32 v20, v20, v29
	v_cndmask_b32_e64 v29, -v36, v36, s5
	v_cndmask_b32_e64 v36, -v37, v37, s5
	v_add_f32_e32 v11, v11, v47
	ds_bpermute_b32 v47, v1, v21
	s_wait_dscnt 0x7
	v_add_f32_e32 v15, v15, v30
	ds_bpermute_b32 v30, v1, v25
	v_cndmask_b32_e64 v21, -v21, v21, s5
	v_cndmask_b32_e64 v25, -v25, v25, s5
	ds_bpermute_b32 v37, v1, v38
	s_wait_dscnt 0x5
	v_add_f32_e32 v26, v26, v31
	v_cndmask_b32_e64 v31, -v38, v38, s5
	v_cndmask_b32_e64 v38, -v40, v40, s5
	;; [unrolled: 1-line block ×3, first 2 shown]
	ds_bpermute_b32 v42, v2, v5
	v_cndmask_b32_e64 v5, -v5, v5, s6
	s_wait_dscnt 0x3
	v_add_f32_e32 v21, v21, v47
	ds_bpermute_b32 v47, v1, v39
	s_wait_dscnt 0x3
	v_add_f32_e32 v25, v25, v30
	v_add_f32_e32 v30, v36, v46
	v_cndmask_b32_e64 v36, -v39, v39, s5
	v_add_f32_e32 v13, v13, v49
	ds_bpermute_b32 v49, v1, v23
	v_cndmask_b32_e64 v23, -v23, v23, s5
	v_cndmask_b32_e64 v39, -v41, v41, s5
	s_wait_dscnt 0x3
	v_add_f32_e32 v31, v31, v37
	ds_bpermute_b32 v46, v2, v9
	v_cndmask_b32_e64 v9, -v9, v9, s6
	s_wait_dscnt 0x2
	v_add_f32_e32 v36, v36, v47
	ds_bpermute_b32 v47, v2, v10
	;; [unrolled: 4-line block ×3, first 2 shown]
	v_add_f32_e32 v17, v17, v44
	ds_bpermute_b32 v44, v1, v27
	ds_bpermute_b32 v41, v2, v4
	v_cndmask_b32_e64 v27, -v27, v27, s5
	v_cndmask_b32_e64 v4, -v4, v4, s6
	ds_bpermute_b32 v1, v1, v43
	s_wait_dscnt 0x4
	v_add_f32_e32 v10, v10, v47
	ds_bpermute_b32 v47, v2, v20
	v_cndmask_b32_e64 v20, -v20, v20, s6
	v_add_f32_e32 v37, v38, v48
	ds_bpermute_b32 v48, v2, v11
	s_wait_dscnt 0x5
	v_add_f32_e32 v38, v39, v49
	ds_bpermute_b32 v49, v2, v12
	v_cndmask_b32_e64 v12, -v12, v12, s6
	s_wait_dscnt 0x4
	v_add_f32_e32 v4, v4, v41
	ds_bpermute_b32 v41, v2, v14
	v_cndmask_b32_e64 v14, -v14, v14, s6
	v_add_f32_e32 v27, v27, v44
	ds_bpermute_b32 v44, v2, v6
	v_cndmask_b32_e64 v6, -v6, v6, s6
	v_cndmask_b32_e64 v11, -v11, v11, s6
	s_wait_dscnt 0x4
	v_add_f32_e32 v20, v20, v47
	s_wait_dscnt 0x2
	v_add_f32_e32 v12, v12, v49
	ds_bpermute_b32 v49, v2, v22
	v_cndmask_b32_e64 v22, -v22, v22, s6
	s_wait_dscnt 0x2
	v_add_f32_e32 v14, v14, v41
	ds_bpermute_b32 v41, v2, v24
	v_cndmask_b32_e64 v24, -v24, v24, s6
	;; [unrolled: 4-line block ×3, first 2 shown]
	v_add_f32_e32 v29, v29, v45
	v_add_f32_e32 v5, v5, v42
	ds_bpermute_b32 v42, v2, v15
	v_add_f32_e32 v39, v40, v50
	v_cndmask_b32_e64 v40, -v43, v43, s5
	v_cndmask_b32_e64 v15, -v15, v15, s6
	ds_bpermute_b32 v43, v2, v8
	v_cndmask_b32_e64 v8, -v8, v8, s6
	ds_bpermute_b32 v45, v2, v7
	v_cndmask_b32_e64 v7, -v7, v7, s6
	s_wait_dscnt 0x5
	v_add_f32_e32 v22, v22, v49
	ds_bpermute_b32 v49, v2, v37
	v_cndmask_b32_e64 v37, -v37, v37, s6
	s_wait_dscnt 0x5
	v_add_f32_e32 v24, v24, v41
	ds_bpermute_b32 v41, v2, v39
	s_wait_dscnt 0x5
	v_add_f32_e32 v16, v16, v44
	ds_bpermute_b32 v44, v2, v26
	v_cndmask_b32_e64 v26, -v26, v26, s6
	v_add_f32_e32 v1, v40, v1
	s_wait_dscnt 0x5
	v_add_f32_e32 v15, v15, v42
	ds_bpermute_b32 v42, v2, v25
	v_cndmask_b32_e64 v25, -v25, v25, s6
	ds_bpermute_b32 v40, v2, v13
	s_wait_dscnt 0x6
	v_add_f32_e32 v8, v8, v43
	ds_bpermute_b32 v43, v2, v18
	v_cndmask_b32_e64 v13, -v13, v13, s6
	v_cndmask_b32_e64 v18, -v18, v18, s6
	s_wait_dscnt 0x3
	v_add_f32_e32 v26, v26, v44
	ds_bpermute_b32 v44, v3, v5
	v_cndmask_b32_e64 v5, -v5, v5, s7
	s_wait_dscnt 0x2
	v_add_f32_e32 v13, v13, v40
	ds_bpermute_b32 v40, v2, v23
	s_wait_dscnt 0x2
	v_add_f32_e32 v18, v18, v43
	ds_bpermute_b32 v43, v2, v29
	v_cndmask_b32_e64 v23, -v23, v23, s6
	v_cndmask_b32_e64 v29, -v29, v29, s6
	ds_bpermute_b32 v47, v2, v31
	v_cndmask_b32_e64 v31, -v31, v31, s6
	s_wait_dscnt 0x3
	v_add_f32_e32 v5, v5, v44
	ds_bpermute_b32 v44, v3, v14
	v_cndmask_b32_e64 v14, -v14, v14, s7
	v_add_f32_e32 v25, v25, v42
	ds_bpermute_b32 v42, v3, v4
	v_cndmask_b32_e64 v4, -v4, v4, s7
	;; [unrolled: 3-line block ×3, first 2 shown]
	s_wait_dscnt 0x5
	v_add_f32_e32 v23, v23, v40
	ds_bpermute_b32 v40, v2, v38
	s_wait_dscnt 0x3
	v_dual_add_f32 v29, v29, v43 :: v_dual_add_f32 v14, v14, v44
	ds_bpermute_b32 v44, v3, v24
	v_cndmask_b32_e64 v24, -v24, v24, s7
	s_wait_dscnt 0x3
	v_dual_add_f32 v4, v4, v42 :: v_dual_add_f32 v31, v31, v47
	s_wait_dscnt 0x2
	v_add_f32_e32 v21, v21, v48
	ds_bpermute_b32 v48, v2, v36
	v_cndmask_b32_e64 v36, -v36, v36, s6
	s_wait_dscnt 0x1
	v_add_f32_e32 v24, v24, v44
	s_wait_dscnt 0x0
	s_delay_alu instid0(VALU_DEP_2)
	v_add_f32_e32 v43, v36, v48
	v_cndmask_b32_e64 v36, -v38, v38, s6
	v_add_f32_e32 v9, v9, v46
	ds_bpermute_b32 v46, v2, v19
	v_cndmask_b32_e64 v19, -v19, v19, s6
	ds_bpermute_b32 v38, v3, v6
	ds_bpermute_b32 v48, v3, v10
	v_add_f32_e32 v40, v36, v40
	v_cndmask_b32_e64 v10, -v10, v10, s7
	ds_bpermute_b32 v36, v3, v11
	ds_bpermute_b32 v47, v3, v9
	v_cndmask_b32_e64 v9, -v9, v9, s7
	ds_bpermute_b32 v44, v3, v40
	s_wait_dscnt 0x5
	v_add_f32_e32 v19, v19, v46
	ds_bpermute_b32 v46, v2, v30
	v_cndmask_b32_e64 v30, -v30, v30, s6
	v_add_f32_e32 v7, v7, v45
	ds_bpermute_b32 v45, v2, v17
	v_cndmask_b32_e64 v17, -v17, v17, s6
	s_wait_dscnt 0x5
	v_add_f32_e32 v10, v10, v48
	ds_bpermute_b32 v48, v3, v20
	v_cndmask_b32_e64 v20, -v20, v20, s7
	s_wait_dscnt 0x2
	v_dual_add_f32 v9, v9, v47 :: v_dual_add_f32 v30, v30, v46
	ds_bpermute_b32 v46, v3, v8
	v_cndmask_b32_e64 v8, -v8, v8, s7
	s_wait_dscnt 0x2
	v_add_f32_e32 v17, v17, v45
	ds_bpermute_b32 v45, v2, v27
	ds_bpermute_b32 v2, v2, v1
	v_cndmask_b32_e64 v1, -v1, v1, s6
	v_cndmask_b32_e64 v27, -v27, v27, s6
	s_wait_dscnt 0x3
	v_add_f32_e32 v20, v20, v48
	ds_bpermute_b32 v48, v3, v31
	v_cndmask_b32_e64 v31, -v31, v31, s7
	s_wait_dscnt 0x3
	v_add_f32_e32 v8, v8, v46
	ds_bpermute_b32 v46, v3, v18
	v_cndmask_b32_e64 v18, -v18, v18, s7
	s_wait_dscnt 0x3
	v_add_f32_e32 v27, v27, v45
	s_wait_dscnt 0x2
	v_add_f32_e32 v1, v1, v2
	v_cndmask_b32_e64 v2, -v6, v6, s7
	v_add_f32_e32 v45, v37, v49
	v_cndmask_b32_e64 v37, -v39, v39, s6
	ds_bpermute_b32 v49, v3, v15
	v_cndmask_b32_e64 v15, -v15, v15, s7
	v_add_f32_e32 v6, v2, v38
	ds_bpermute_b32 v42, v3, v13
	ds_bpermute_b32 v38, v3, v16
	v_cndmask_b32_e64 v2, -v11, v11, s7
	v_cndmask_b32_e64 v13, -v13, v13, s7
	ds_bpermute_b32 v39, v3, v7
	v_cndmask_b32_e64 v7, -v7, v7, s7
	v_add_f32_e32 v11, v2, v36
	v_cndmask_b32_e64 v2, -v16, v16, s7
	s_wait_dscnt 0x3
	v_dual_add_f32 v18, v18, v46 :: v_dual_add_f32 v15, v15, v49
	ds_bpermute_b32 v49, v3, v25
	v_cndmask_b32_e64 v25, -v25, v25, s7
	s_wait_dscnt 0x3
	v_add_f32_e32 v13, v13, v42
	ds_bpermute_b32 v42, v3, v23
	s_wait_dscnt 0x3
	v_add_f32_e32 v16, v2, v38
	ds_bpermute_b32 v38, v3, v26
	v_cndmask_b32_e64 v23, -v23, v23, s7
	v_cndmask_b32_e64 v26, -v26, v26, s7
	ds_bpermute_b32 v36, v3, v21
	v_cndmask_b32_e64 v2, -v21, v21, s7
	s_wait_dscnt 0x3
	v_add_f32_e32 v25, v25, v49
	s_wait_dscnt 0x2
	v_add_f32_e32 v23, v23, v42
	;; [unrolled: 2-line block ×3, first 2 shown]
	v_add_f32_e32 v38, v31, v48
	ds_bpermute_b32 v42, v3, v45
	v_add_f32_e32 v41, v37, v41
	ds_bpermute_b32 v37, v3, v12
	v_cndmask_b32_e64 v12, -v12, v12, s7
	v_cndmask_b32_e64 v31, -v40, v40, s7
	s_wait_dscnt 0x2
	v_add_f32_e32 v21, v2, v36
	ds_bpermute_b32 v2, v3, v43
	s_wait_dscnt 0x1
	v_add_f32_e32 v12, v12, v37
	ds_bpermute_b32 v47, v3, v19
	v_cndmask_b32_e64 v19, -v19, v19, s7
	ds_bpermute_b32 v37, v3, v22
	v_cndmask_b32_e64 v22, -v22, v22, s7
	s_wait_dscnt 0x1
	v_add_f32_e32 v19, v19, v47
	ds_bpermute_b32 v47, v3, v30
	v_cndmask_b32_e64 v30, -v30, v30, s7
	s_wait_dscnt 0x1
	v_add_f32_e32 v22, v22, v37
	ds_bpermute_b32 v46, v3, v29
	v_cndmask_b32_e64 v29, -v29, v29, s7
	v_add_f32_e32 v7, v7, v39
	ds_bpermute_b32 v39, v3, v17
	v_cndmask_b32_e64 v17, -v17, v17, s7
	s_wait_dscnt 0x2
	v_add_f32_e32 v37, v30, v47
	v_cndmask_b32_e64 v30, -v45, v45, s7
	s_wait_dscnt 0x1
	v_add_f32_e32 v36, v29, v46
	v_cndmask_b32_e64 v29, -v43, v43, s7
	s_delay_alu instid0(VALU_DEP_3)
	v_add_f32_e32 v40, v30, v42
	ds_bpermute_b32 v49, v3, v41
	v_cndmask_b32_e64 v43, -v41, v41, s7
	s_wait_dscnt 0x1
	v_add_f32_e32 v17, v17, v39
	ds_bpermute_b32 v39, v3, v27
	v_cndmask_b32_e64 v27, -v27, v27, s7
	v_add_f32_e32 v41, v31, v44
	s_wait_dscnt 0x1
	v_add_f32_e32 v42, v43, v49
	ds_bpermute_b32 v3, v3, v1
	v_cndmask_b32_e64 v1, -v1, v1, s7
	s_wait_dscnt 0x1
	v_add_f32_e32 v27, v27, v39
	v_add_f32_e32 v39, v29, v2
	s_mul_u64 s[6:7], s[14:15], s[16:17]
	s_wait_alu 0xfffe
	s_lshl_b64 s[6:7], s[6:7], 1
	s_wait_alu 0xfffe
	s_add_nc_u64 s[6:7], s[10:11], s[6:7]
	s_wait_dscnt 0x0
	v_add_f32_e32 v43, v1, v3
	ds_store_b128 v0, v[4:7]
	ds_store_b128 v0, v[8:11] offset:4096
	ds_store_b128 v0, v[12:15] offset:8192
	;; [unrolled: 1-line block ×7, first 2 shown]
	s_wait_loadcnt_dscnt 0x0
	s_barrier_signal -1
	s_barrier_wait -1
	global_inv scope:SCOPE_SE
	ds_load_b128 v[0:3], v28
	ds_load_b128 v[8:11], v28 offset:8192
	ds_load_b128 v[4:7], v28 offset:16384
	;; [unrolled: 1-line block ×7, first 2 shown]
	s_wait_dscnt 0x6
	v_dual_add_f32 v48, v0, v8 :: v_dual_add_f32 v49, v1, v9
	s_wait_dscnt 0x4
	v_dual_add_f32 v50, v4, v12 :: v_dual_add_f32 v51, v5, v13
	v_dual_add_f32 v44, v2, v10 :: v_dual_add_f32 v45, v3, v11
	;; [unrolled: 1-line block ×3, first 2 shown]
	s_wait_dscnt 0x2
	v_add_f32_e32 v42, v16, v24
	s_wait_dscnt 0x0
	v_dual_add_f32 v40, v17, v25 :: v_dual_add_f32 v43, v20, v28
	v_dual_add_f32 v41, v21, v29 :: v_dual_add_f32 v36, v18, v26
	;; [unrolled: 1-line block ×3, first 2 shown]
	v_add_f32_e32 v39, v23, v31
	s_and_saveexec_b32 s5, s4
	s_cbranch_execz .LBB36_10
; %bb.9:
	s_delay_alu instid0(VALU_DEP_1) | instskip(SKIP_3) | instid1(VALU_DEP_3)
	v_dual_add_f32 v52, v37, v39 :: v_dual_add_f32 v53, v36, v38
	v_dual_add_f32 v54, v40, v41 :: v_dual_add_f32 v55, v42, v43
	;; [unrolled: 1-line block ×3, first 2 shown]
	s_wait_kmcnt 0x0
	v_dual_mul_f32 v52, s1, v52 :: v_dual_mul_f32 v53, s1, v53
	s_delay_alu instid0(VALU_DEP_3) | instskip(NEXT) | instid1(VALU_DEP_3)
	v_dual_mul_f32 v54, s1, v54 :: v_dual_mul_f32 v55, s1, v55
	v_mul_f32_e32 v56, s1, v56
	s_delay_alu instid0(VALU_DEP_3) | instskip(NEXT) | instid1(VALU_DEP_4)
	v_bfe_u32 v60, v52, 16, 1
	v_bfe_u32 v61, v53, 16, 1
	v_or_b32_e32 v62, 0x400000, v52
	v_cmp_u_f32_e64 s0, v52, v52
	v_or_b32_e32 v63, 0x400000, v53
	v_add3_u32 v60, v60, v52, 0x7fff
	v_bfe_u32 v64, v54, 16, 1
	v_add3_u32 v61, v61, v53, 0x7fff
	v_dual_add_f32 v58, v49, v51 :: v_dual_add_f32 v59, v48, v50
	s_wait_alu 0xf1ff
	v_cndmask_b32_e64 v52, v60, v62, s0
	v_cmp_u_f32_e64 s0, v53, v53
	v_bfe_u32 v60, v55, 16, 1
	v_or_b32_e32 v62, 0x400000, v54
	v_mul_f32_e32 v59, s1, v59
	s_wait_alu 0xf1ff
	v_cndmask_b32_e64 v53, v61, v63, s0
	v_add3_u32 v61, v64, v54, 0x7fff
	v_cmp_u_f32_e64 s0, v54, v54
	v_add3_u32 v60, v60, v55, 0x7fff
	v_or_b32_e32 v63, 0x400000, v55
	v_or_b32_e32 v65, 0x400000, v59
	s_wait_alu 0xf1ff
	v_cndmask_b32_e64 v54, v61, v62, s0
	v_cmp_u_f32_e64 s0, v55, v55
	v_mul_f32_e32 v55, s1, v57
	v_bfe_u32 v61, v56, 16, 1
	v_mul_f32_e32 v57, s1, v58
	s_wait_alu 0xf1ff
	v_cndmask_b32_e64 v60, v60, v63, s0
	v_bfe_u32 v62, v55, 16, 1
	v_add3_u32 v58, v61, v56, 0x7fff
	v_or_b32_e32 v61, 0x400000, v56
	v_cmp_u_f32_e64 s0, v56, v56
	v_bfe_u32 v63, v57, 16, 1
	v_or_b32_e32 v64, 0x400000, v57
	v_perm_b32 v54, v54, v60, 0x7060302
	s_wait_alu 0xf1ff
	v_cndmask_b32_e64 v56, v58, v61, s0
	v_add3_u32 v61, v62, v55, 0x7fff
	v_or_b32_e32 v62, 0x400000, v55
	v_cmp_u_f32_e64 s0, v55, v55
	v_bfe_u32 v58, v59, 16, 1
	v_add3_u32 v63, v63, v57, 0x7fff
	v_perm_b32 v55, v52, v53, 0x7060302
	s_wait_alu 0xf1ff
	v_cndmask_b32_e64 v61, v61, v62, s0
	v_cmp_u_f32_e64 s0, v57, v57
	v_add3_u32 v58, v58, v59, 0x7fff
	s_delay_alu instid0(VALU_DEP_3) | instskip(SKIP_1) | instid1(VALU_DEP_3)
	v_perm_b32 v53, v56, v61, 0x7060302
	s_wait_alu 0xf1ff
	v_cndmask_b32_e64 v57, v63, v64, s0
	v_cmp_u_f32_e64 s0, v59, v59
	s_wait_alu 0xf1ff
	s_delay_alu instid0(VALU_DEP_1) | instskip(NEXT) | instid1(VALU_DEP_1)
	v_cndmask_b32_e64 v58, v58, v65, s0
	v_perm_b32 v52, v57, v58, 0x7060302
	global_store_b128 v35, v[52:55], s[6:7]
.LBB36_10:
	s_wait_alu 0xfffe
	s_or_b32 exec_lo, exec_lo, s5
	v_dual_sub_f32 v35, v1, v9 :: v_dual_sub_f32 v52, v0, v8
	v_dual_sub_f32 v13, v5, v13 :: v_dual_sub_f32 v12, v4, v12
	;; [unrolled: 1-line block ×8, first 2 shown]
	s_and_saveexec_b32 s4, s3
	s_cbranch_execnz .LBB36_14
; %bb.11:
	s_wait_alu 0xfffe
	s_or_b32 exec_lo, exec_lo, s4
	s_and_saveexec_b32 s3, s2
	s_cbranch_execnz .LBB36_15
.LBB36_12:
	s_or_b32 exec_lo, exec_lo, s3
	s_and_saveexec_b32 s0, vcc_lo
	s_cbranch_execnz .LBB36_16
.LBB36_13:
	s_endpgm
.LBB36_14:
	v_dual_add_f32 v14, v52, v12 :: v_dual_add_f32 v15, v35, v13
	v_dual_add_f32 v16, v9, v11 :: v_dual_add_f32 v17, v8, v10
	v_add_f32_e32 v18, v6, v7
	s_wait_kmcnt 0x0
	s_delay_alu instid0(VALU_DEP_3) | instskip(NEXT) | instid1(VALU_DEP_3)
	v_dual_mul_f32 v14, s1, v14 :: v_dual_mul_f32 v15, s1, v15
	v_dual_mul_f32 v16, s1, v16 :: v_dual_mul_f32 v17, s1, v17
	s_delay_alu instid0(VALU_DEP_3) | instskip(NEXT) | instid1(VALU_DEP_3)
	v_mul_f32_e32 v18, s1, v18
	v_bfe_u32 v19, v14, 16, 1
	v_or_b32_e32 v20, 0x400000, v14
	s_delay_alu instid0(VALU_DEP_4)
	v_bfe_u32 v23, v16, 16, 1
	v_cmp_u_f32_e64 s0, v14, v14
	v_or_b32_e32 v24, 0x400000, v16
	v_add3_u32 v19, v19, v14, 0x7fff
	v_bfe_u32 v25, v17, 16, 1
	v_add3_u32 v23, v23, v16, 0x7fff
	v_bfe_u32 v21, v15, 16, 1
	v_or_b32_e32 v22, 0x400000, v15
	s_wait_alu 0xf1ff
	v_cndmask_b32_e64 v14, v19, v20, s0
	v_cmp_u_f32_e64 s0, v16, v16
	v_add3_u32 v16, v25, v17, 0x7fff
	v_or_b32_e32 v20, 0x400000, v17
	v_dual_add_f32 v25, v1, v3 :: v_dual_add_f32 v26, v0, v2
	s_wait_alu 0xf1ff
	v_cndmask_b32_e64 v19, v23, v24, s0
	v_add_f32_e32 v23, v4, v5
	v_cmp_u_f32_e64 s0, v17, v17
	v_bfe_u32 v24, v18, 16, 1
	v_mul_f32_e32 v17, s1, v25
	v_or_b32_e32 v25, 0x400000, v18
	v_add3_u32 v21, v21, v15, 0x7fff
	s_wait_alu 0xf1ff
	v_cndmask_b32_e64 v20, v16, v20, s0
	v_dual_mul_f32 v16, s1, v23 :: v_dual_mul_f32 v23, s1, v26
	v_add3_u32 v24, v24, v18, 0x7fff
	v_bfe_u32 v27, v17, 16, 1
	v_cmp_u_f32_e64 s0, v18, v18
	s_delay_alu instid0(VALU_DEP_4)
	v_bfe_u32 v26, v16, 16, 1
	v_bfe_u32 v28, v23, 16, 1
	v_or_b32_e32 v29, 0x400000, v16
	s_wait_alu 0xf1ff
	v_cndmask_b32_e64 v18, v24, v25, s0
	v_add3_u32 v24, v26, v16, 0x7fff
	v_add3_u32 v25, v27, v17, 0x7fff
	v_or_b32_e32 v26, 0x400000, v17
	v_cmp_u_f32_e64 s0, v17, v17
	v_add3_u32 v27, v28, v23, 0x7fff
	v_or_b32_e32 v28, 0x400000, v23
	s_wait_alu 0xf1ff
	s_delay_alu instid0(VALU_DEP_3) | instskip(SKIP_2) | instid1(VALU_DEP_1)
	v_cndmask_b32_e64 v17, v25, v26, s0
	v_cmp_u_f32_e64 s0, v23, v23
	s_wait_alu 0xf1ff
	v_cndmask_b32_e64 v23, v27, v28, s0
	v_cmp_u_f32_e64 s0, v16, v16
	s_delay_alu instid0(VALU_DEP_2) | instskip(SKIP_1) | instid1(VALU_DEP_2)
	v_perm_b32 v17, v23, v17, 0x7060302
	s_wait_alu 0xf1ff
	v_cndmask_b32_e64 v16, v24, v29, s0
	v_cmp_u_f32_e64 s0, v15, v15
	v_perm_b32 v15, v20, v19, 0x7060302
	s_delay_alu instid0(VALU_DEP_3) | instskip(SKIP_1) | instid1(VALU_DEP_3)
	v_perm_b32 v16, v16, v18, 0x7060302
	s_wait_alu 0xf1ff
	v_cndmask_b32_e64 v21, v21, v22, s0
	s_delay_alu instid0(VALU_DEP_1)
	v_perm_b32 v14, v21, v14, 0x7060302
	global_store_b128 v34, v[14:17], s[6:7]
	s_wait_alu 0xfffe
	s_or_b32 exec_lo, exec_lo, s4
	s_and_saveexec_b32 s3, s2
	s_cbranch_execz .LBB36_12
.LBB36_15:
	v_dual_sub_f32 v14, v48, v50 :: v_dual_sub_f32 v15, v49, v51
	v_dual_sub_f32 v16, v44, v46 :: v_dual_sub_f32 v17, v45, v47
	v_sub_f32_e32 v18, v42, v43
	s_wait_kmcnt 0x0
	s_delay_alu instid0(VALU_DEP_3) | instskip(NEXT) | instid1(VALU_DEP_3)
	v_dual_mul_f32 v14, s1, v14 :: v_dual_mul_f32 v15, s1, v15
	v_dual_mul_f32 v16, s1, v16 :: v_dual_mul_f32 v17, s1, v17
	v_sub_f32_e32 v26, v37, v39
	s_delay_alu instid0(VALU_DEP_3) | instskip(SKIP_1) | instid1(VALU_DEP_4)
	v_bfe_u32 v19, v14, 16, 1
	v_or_b32_e32 v20, 0x400000, v14
	v_bfe_u32 v23, v16, 16, 1
	v_cmp_u_f32_e64 s0, v14, v14
	v_or_b32_e32 v24, 0x400000, v16
	v_add3_u32 v19, v19, v14, 0x7fff
	v_bfe_u32 v25, v17, 16, 1
	v_add3_u32 v23, v23, v16, 0x7fff
	v_bfe_u32 v21, v15, 16, 1
	v_or_b32_e32 v22, 0x400000, v15
	s_wait_alu 0xf1ff
	v_cndmask_b32_e64 v14, v19, v20, s0
	v_cmp_u_f32_e64 s0, v16, v16
	v_add3_u32 v16, v25, v17, 0x7fff
	v_or_b32_e32 v20, 0x400000, v17
	v_sub_f32_e32 v25, v36, v38
	v_mul_f32_e32 v18, s1, v18
	s_wait_alu 0xf1ff
	v_cndmask_b32_e64 v19, v23, v24, s0
	v_sub_f32_e32 v23, v40, v41
	v_cmp_u_f32_e64 s0, v17, v17
	v_mul_f32_e32 v17, s1, v25
	v_bfe_u32 v24, v18, 16, 1
	v_or_b32_e32 v25, 0x400000, v18
	v_add3_u32 v21, v21, v15, 0x7fff
	s_wait_alu 0xf1ff
	v_cndmask_b32_e64 v20, v16, v20, s0
	v_dual_mul_f32 v16, s1, v23 :: v_dual_mul_f32 v23, s1, v26
	v_add3_u32 v24, v24, v18, 0x7fff
	v_bfe_u32 v27, v17, 16, 1
	v_cmp_u_f32_e64 s0, v18, v18
	s_delay_alu instid0(VALU_DEP_4)
	v_bfe_u32 v26, v16, 16, 1
	v_bfe_u32 v28, v23, 16, 1
	v_or_b32_e32 v29, 0x400000, v16
	s_wait_alu 0xf1ff
	v_cndmask_b32_e64 v18, v24, v25, s0
	v_add3_u32 v24, v26, v16, 0x7fff
	v_add3_u32 v25, v27, v17, 0x7fff
	v_or_b32_e32 v26, 0x400000, v17
	v_cmp_u_f32_e64 s0, v17, v17
	v_add3_u32 v27, v28, v23, 0x7fff
	v_or_b32_e32 v28, 0x400000, v23
	s_wait_alu 0xf1ff
	s_delay_alu instid0(VALU_DEP_3) | instskip(SKIP_2) | instid1(VALU_DEP_1)
	v_cndmask_b32_e64 v17, v25, v26, s0
	v_cmp_u_f32_e64 s0, v23, v23
	s_wait_alu 0xf1ff
	v_cndmask_b32_e64 v23, v27, v28, s0
	v_cmp_u_f32_e64 s0, v16, v16
	s_delay_alu instid0(VALU_DEP_2) | instskip(SKIP_1) | instid1(VALU_DEP_2)
	v_perm_b32 v17, v23, v17, 0x7060302
	s_wait_alu 0xf1ff
	v_cndmask_b32_e64 v16, v24, v29, s0
	v_cmp_u_f32_e64 s0, v15, v15
	v_perm_b32 v15, v20, v19, 0x7060302
	s_delay_alu instid0(VALU_DEP_3) | instskip(SKIP_1) | instid1(VALU_DEP_3)
	v_perm_b32 v16, v16, v18, 0x7060302
	s_wait_alu 0xf1ff
	v_cndmask_b32_e64 v21, v21, v22, s0
	s_delay_alu instid0(VALU_DEP_1)
	v_perm_b32 v14, v21, v14, 0x7060302
	global_store_b128 v33, v[14:17], s[6:7]
	s_or_b32 exec_lo, exec_lo, s3
	s_and_saveexec_b32 s0, vcc_lo
	s_cbranch_execz .LBB36_13
.LBB36_16:
	v_dual_sub_f32 v12, v52, v12 :: v_dual_sub_f32 v13, v35, v13
	v_dual_sub_f32 v8, v8, v10 :: v_dual_sub_f32 v9, v9, v11
	v_sub_f32_e32 v6, v6, v7
	s_wait_kmcnt 0x0
	s_delay_alu instid0(VALU_DEP_3) | instskip(NEXT) | instid1(VALU_DEP_3)
	v_dual_mul_f32 v10, s1, v12 :: v_dual_mul_f32 v7, s1, v13
	v_dual_mul_f32 v8, s1, v8 :: v_dual_sub_f32 v1, v1, v3
	v_mul_f32_e32 v9, s1, v9
	s_delay_alu instid0(VALU_DEP_3)
	v_bfe_u32 v11, v10, 16, 1
	v_or_b32_e32 v12, 0x400000, v10
	v_cmp_u_f32_e32 vcc_lo, v10, v10
	v_bfe_u32 v17, v8, 16, 1
	v_bfe_u32 v15, v9, 16, 1
	v_add3_u32 v11, v11, v10, 0x7fff
	v_or_b32_e32 v16, 0x400000, v9
	v_sub_f32_e32 v4, v4, v5
	v_bfe_u32 v13, v7, 16, 1
	v_add3_u32 v15, v15, v9, 0x7fff
	v_dual_cndmask_b32 v10, v11, v12 :: v_dual_mul_f32 v1, s1, v1
	v_cmp_u_f32_e32 vcc_lo, v9, v9
	v_mul_f32_e32 v6, s1, v6
	v_add3_u32 v11, v17, v8, 0x7fff
	v_or_b32_e32 v12, 0x400000, v8
	s_wait_alu 0xfffd
	v_dual_sub_f32 v0, v0, v2 :: v_dual_cndmask_b32 v9, v15, v16
	v_bfe_u32 v5, v6, 16, 1
	v_cmp_u_f32_e32 vcc_lo, v8, v8
	v_mul_f32_e32 v2, s1, v4
	v_or_b32_e32 v14, 0x400000, v7
	v_add3_u32 v13, v13, v7, 0x7fff
	v_mul_f32_e32 v0, s1, v0
	s_wait_alu 0xfffd
	v_cndmask_b32_e32 v8, v11, v12, vcc_lo
	v_add3_u32 v3, v5, v6, 0x7fff
	v_or_b32_e32 v4, 0x400000, v6
	v_bfe_u32 v5, v2, 16, 1
	v_bfe_u32 v11, v1, 16, 1
	v_cmp_u_f32_e32 vcc_lo, v6, v6
	v_bfe_u32 v12, v0, 16, 1
	v_or_b32_e32 v6, 0x400000, v1
	v_or_b32_e32 v15, 0x400000, v2
	s_wait_alu 0xfffd
	v_cndmask_b32_e32 v4, v3, v4, vcc_lo
	v_add3_u32 v3, v5, v2, 0x7fff
	v_add3_u32 v5, v11, v1, 0x7fff
	v_cmp_u_f32_e32 vcc_lo, v1, v1
	v_add3_u32 v11, v12, v0, 0x7fff
	v_or_b32_e32 v12, 0x400000, v0
	s_wait_alu 0xfffd
	v_cndmask_b32_e32 v1, v5, v6, vcc_lo
	v_cmp_u_f32_e32 vcc_lo, v0, v0
	s_wait_alu 0xfffd
	v_cndmask_b32_e32 v0, v11, v12, vcc_lo
	v_cmp_u_f32_e32 vcc_lo, v2, v2
	;; [unrolled: 3-line block ×3, first 2 shown]
	v_perm_b32 v3, v0, v1, 0x7060302
	s_delay_alu instid0(VALU_DEP_3) | instskip(SKIP_3) | instid1(VALU_DEP_2)
	v_perm_b32 v2, v2, v4, 0x7060302
	s_wait_alu 0xfffd
	v_cndmask_b32_e32 v5, v13, v14, vcc_lo
	v_perm_b32 v1, v8, v9, 0x7060302
	v_perm_b32 v0, v5, v10, 0x7060302
	global_store_b128 v32, v[0:3], s[6:7]
	s_endpgm
	.section	.rodata,"a",@progbits
	.p2align	6, 0x0
	.amdhsa_kernel _Z30fast_hadamard_transform_kernelI37fast_hadamard_transform_kernel_traitsILi256ELi13E14__hip_bfloat16EEv18HadamardParamsBase
		.amdhsa_group_segment_fixed_size 0
		.amdhsa_private_segment_fixed_size 0
		.amdhsa_kernarg_size 312
		.amdhsa_user_sgpr_count 2
		.amdhsa_user_sgpr_dispatch_ptr 0
		.amdhsa_user_sgpr_queue_ptr 0
		.amdhsa_user_sgpr_kernarg_segment_ptr 1
		.amdhsa_user_sgpr_dispatch_id 0
		.amdhsa_user_sgpr_private_segment_size 0
		.amdhsa_wavefront_size32 1
		.amdhsa_uses_dynamic_stack 0
		.amdhsa_enable_private_segment 0
		.amdhsa_system_sgpr_workgroup_id_x 1
		.amdhsa_system_sgpr_workgroup_id_y 0
		.amdhsa_system_sgpr_workgroup_id_z 0
		.amdhsa_system_sgpr_workgroup_info 0
		.amdhsa_system_vgpr_workitem_id 0
		.amdhsa_next_free_vgpr 66
		.amdhsa_next_free_sgpr 18
		.amdhsa_reserve_vcc 1
		.amdhsa_float_round_mode_32 0
		.amdhsa_float_round_mode_16_64 0
		.amdhsa_float_denorm_mode_32 3
		.amdhsa_float_denorm_mode_16_64 3
		.amdhsa_fp16_overflow 0
		.amdhsa_workgroup_processor_mode 1
		.amdhsa_memory_ordered 1
		.amdhsa_forward_progress 1
		.amdhsa_inst_pref_size 76
		.amdhsa_round_robin_scheduling 0
		.amdhsa_exception_fp_ieee_invalid_op 0
		.amdhsa_exception_fp_denorm_src 0
		.amdhsa_exception_fp_ieee_div_zero 0
		.amdhsa_exception_fp_ieee_overflow 0
		.amdhsa_exception_fp_ieee_underflow 0
		.amdhsa_exception_fp_ieee_inexact 0
		.amdhsa_exception_int_div_zero 0
	.end_amdhsa_kernel
	.section	.text._Z30fast_hadamard_transform_kernelI37fast_hadamard_transform_kernel_traitsILi256ELi13E14__hip_bfloat16EEv18HadamardParamsBase,"axG",@progbits,_Z30fast_hadamard_transform_kernelI37fast_hadamard_transform_kernel_traitsILi256ELi13E14__hip_bfloat16EEv18HadamardParamsBase,comdat
.Lfunc_end36:
	.size	_Z30fast_hadamard_transform_kernelI37fast_hadamard_transform_kernel_traitsILi256ELi13E14__hip_bfloat16EEv18HadamardParamsBase, .Lfunc_end36-_Z30fast_hadamard_transform_kernelI37fast_hadamard_transform_kernel_traitsILi256ELi13E14__hip_bfloat16EEv18HadamardParamsBase
                                        ; -- End function
	.set _Z30fast_hadamard_transform_kernelI37fast_hadamard_transform_kernel_traitsILi256ELi13E14__hip_bfloat16EEv18HadamardParamsBase.num_vgpr, 66
	.set _Z30fast_hadamard_transform_kernelI37fast_hadamard_transform_kernel_traitsILi256ELi13E14__hip_bfloat16EEv18HadamardParamsBase.num_agpr, 0
	.set _Z30fast_hadamard_transform_kernelI37fast_hadamard_transform_kernel_traitsILi256ELi13E14__hip_bfloat16EEv18HadamardParamsBase.numbered_sgpr, 18
	.set _Z30fast_hadamard_transform_kernelI37fast_hadamard_transform_kernel_traitsILi256ELi13E14__hip_bfloat16EEv18HadamardParamsBase.num_named_barrier, 0
	.set _Z30fast_hadamard_transform_kernelI37fast_hadamard_transform_kernel_traitsILi256ELi13E14__hip_bfloat16EEv18HadamardParamsBase.private_seg_size, 0
	.set _Z30fast_hadamard_transform_kernelI37fast_hadamard_transform_kernel_traitsILi256ELi13E14__hip_bfloat16EEv18HadamardParamsBase.uses_vcc, 1
	.set _Z30fast_hadamard_transform_kernelI37fast_hadamard_transform_kernel_traitsILi256ELi13E14__hip_bfloat16EEv18HadamardParamsBase.uses_flat_scratch, 0
	.set _Z30fast_hadamard_transform_kernelI37fast_hadamard_transform_kernel_traitsILi256ELi13E14__hip_bfloat16EEv18HadamardParamsBase.has_dyn_sized_stack, 0
	.set _Z30fast_hadamard_transform_kernelI37fast_hadamard_transform_kernel_traitsILi256ELi13E14__hip_bfloat16EEv18HadamardParamsBase.has_recursion, 0
	.set _Z30fast_hadamard_transform_kernelI37fast_hadamard_transform_kernel_traitsILi256ELi13E14__hip_bfloat16EEv18HadamardParamsBase.has_indirect_call, 0
	.section	.AMDGPU.csdata,"",@progbits
; Kernel info:
; codeLenInByte = 9720
; TotalNumSgprs: 20
; NumVgprs: 66
; ScratchSize: 0
; MemoryBound: 0
; FloatMode: 240
; IeeeMode: 1
; LDSByteSize: 0 bytes/workgroup (compile time only)
; SGPRBlocks: 0
; VGPRBlocks: 8
; NumSGPRsForWavesPerEU: 20
; NumVGPRsForWavesPerEU: 66
; Occupancy: 16
; WaveLimiterHint : 0
; COMPUTE_PGM_RSRC2:SCRATCH_EN: 0
; COMPUTE_PGM_RSRC2:USER_SGPR: 2
; COMPUTE_PGM_RSRC2:TRAP_HANDLER: 0
; COMPUTE_PGM_RSRC2:TGID_X_EN: 1
; COMPUTE_PGM_RSRC2:TGID_Y_EN: 0
; COMPUTE_PGM_RSRC2:TGID_Z_EN: 0
; COMPUTE_PGM_RSRC2:TIDIG_COMP_CNT: 0
	.section	.text._Z30fast_hadamard_transform_kernelI37fast_hadamard_transform_kernel_traitsILi256ELi14E14__hip_bfloat16EEv18HadamardParamsBase,"axG",@progbits,_Z30fast_hadamard_transform_kernelI37fast_hadamard_transform_kernel_traitsILi256ELi14E14__hip_bfloat16EEv18HadamardParamsBase,comdat
	.protected	_Z30fast_hadamard_transform_kernelI37fast_hadamard_transform_kernel_traitsILi256ELi14E14__hip_bfloat16EEv18HadamardParamsBase ; -- Begin function _Z30fast_hadamard_transform_kernelI37fast_hadamard_transform_kernel_traitsILi256ELi14E14__hip_bfloat16EEv18HadamardParamsBase
	.globl	_Z30fast_hadamard_transform_kernelI37fast_hadamard_transform_kernel_traitsILi256ELi14E14__hip_bfloat16EEv18HadamardParamsBase
	.p2align	8
	.type	_Z30fast_hadamard_transform_kernelI37fast_hadamard_transform_kernel_traitsILi256ELi14E14__hip_bfloat16EEv18HadamardParamsBase,@function
_Z30fast_hadamard_transform_kernelI37fast_hadamard_transform_kernel_traitsILi256ELi14E14__hip_bfloat16EEv18HadamardParamsBase: ; @_Z30fast_hadamard_transform_kernelI37fast_hadamard_transform_kernel_traitsILi256ELi14E14__hip_bfloat16EEv18HadamardParamsBase
; %bb.0:
	s_clause 0x3
	s_load_b128 s[16:19], s[0:1], 0x10
	s_load_b32 s9, s[0:1], 0x4
	s_load_b128 s[12:15], s[0:1], 0x28
	s_load_b32 s2, s[0:1], 0x44
	v_dual_mov_b32 v5, 0 :: v_dual_lshlrev_b32 v8, 3, v0
	s_mov_b32 s20, ttmp9
	s_ashr_i32 s21, ttmp9, 31
	v_dual_mov_b32 v1, 0 :: v_dual_mov_b32 v2, 0
	v_dual_mov_b32 v3, 0 :: v_dual_mov_b32 v4, 0
	v_dual_mov_b32 v6, 0 :: v_dual_mov_b32 v7, 0
	v_dual_mov_b32 v10, 0 :: v_dual_lshlrev_b32 v71, 4, v0
	v_mov_b32_e32 v9, 0
	s_wait_kmcnt 0x0
	s_mul_u64 s[4:5], s[16:17], s[20:21]
	v_cmp_gt_u32_e64 s8, s9, v8
	s_lshl_b64 s[4:5], s[4:5], 1
	s_delay_alu instid0(SALU_CYCLE_1)
	s_add_nc_u64 s[10:11], s[12:13], s[4:5]
	s_and_saveexec_b32 s3, s8
	s_cbranch_execz .LBB37_2
; %bb.1:
	global_load_b128 v[11:14], v71, s[10:11]
	s_wait_loadcnt 0x0
	v_lshlrev_b32_e32 v10, 16, v11
	v_and_b32_e32 v9, 0xffff0000, v11
	v_lshlrev_b32_e32 v7, 16, v12
	v_and_b32_e32 v6, 0xffff0000, v12
	v_lshlrev_b32_e32 v5, 16, v13
	v_and_b32_e32 v4, 0xffff0000, v13
	v_lshlrev_b32_e32 v3, 16, v14
	v_and_b32_e32 v2, 0xffff0000, v14
.LBB37_2:
	s_or_b32 exec_lo, exec_lo, s3
	s_and_b32 s12, 0xffff, s2
	v_dual_mov_b32 v11, 0 :: v_dual_mov_b32 v12, 0
	v_dual_mov_b32 v8, 0 :: v_dual_add_nc_u32 v15, s12, v0
	v_dual_mov_b32 v14, 0 :: v_dual_mov_b32 v19, 0
	s_delay_alu instid0(VALU_DEP_2) | instskip(SKIP_2) | instid1(VALU_DEP_3)
	v_dual_mov_b32 v13, 0 :: v_dual_lshlrev_b32 v16, 3, v15
	v_mov_b32_e32 v18, 0
	v_lshlrev_b32_e32 v70, 4, v15
	v_cmp_gt_u32_e64 s7, s9, v16
	s_and_saveexec_b32 s2, s7
	s_cbranch_execz .LBB37_4
; %bb.3:
	global_load_b128 v[20:23], v70, s[10:11]
	s_wait_loadcnt 0x0
	v_lshlrev_b32_e32 v19, 16, v20
	v_and_b32_e32 v18, 0xffff0000, v20
	v_lshlrev_b32_e32 v14, 16, v21
	v_and_b32_e32 v13, 0xffff0000, v21
	;; [unrolled: 2-line block ×4, first 2 shown]
.LBB37_4:
	s_or_b32 exec_lo, exec_lo, s2
	v_dual_mov_b32 v15, 0 :: v_dual_add_nc_u32 v24, s12, v15
	v_mov_b32_e32 v20, 0
	v_dual_mov_b32 v16, 0 :: v_dual_mov_b32 v17, 0
	s_delay_alu instid0(VALU_DEP_3) | instskip(SKIP_3) | instid1(VALU_DEP_4)
	v_lshlrev_b32_e32 v25, 3, v24
	v_dual_mov_b32 v21, 0 :: v_dual_mov_b32 v22, 0
	v_dual_mov_b32 v23, 0 :: v_dual_mov_b32 v26, 0
	v_lshlrev_b32_e32 v69, 4, v24
	v_cmp_gt_u32_e64 s6, s9, v25
	v_mov_b32_e32 v25, 0
	s_and_saveexec_b32 s2, s6
	s_cbranch_execz .LBB37_6
; %bb.5:
	global_load_b128 v[27:30], v69, s[10:11]
	s_wait_loadcnt 0x0
	v_lshlrev_b32_e32 v26, 16, v27
	v_and_b32_e32 v25, 0xffff0000, v27
	v_lshlrev_b32_e32 v23, 16, v28
	v_and_b32_e32 v22, 0xffff0000, v28
	v_lshlrev_b32_e32 v21, 16, v29
	v_and_b32_e32 v20, 0xffff0000, v29
	v_lshlrev_b32_e32 v17, 16, v30
	v_and_b32_e32 v16, 0xffff0000, v30
.LBB37_6:
	s_or_b32 exec_lo, exec_lo, s2
	v_dual_mov_b32 v24, 0 :: v_dual_add_nc_u32 v31, s12, v24
	v_dual_mov_b32 v27, 0 :: v_dual_mov_b32 v28, 0
	v_dual_mov_b32 v30, 0 :: v_dual_mov_b32 v35, 0
	s_delay_alu instid0(VALU_DEP_3) | instskip(SKIP_2) | instid1(VALU_DEP_3)
	v_dual_mov_b32 v29, 0 :: v_dual_lshlrev_b32 v32, 3, v31
	v_mov_b32_e32 v34, 0
	v_lshlrev_b32_e32 v68, 4, v31
	v_cmp_gt_u32_e64 s5, s9, v32
	s_and_saveexec_b32 s2, s5
	s_cbranch_execz .LBB37_8
; %bb.7:
	global_load_b128 v[36:39], v68, s[10:11]
	s_wait_loadcnt 0x0
	v_lshlrev_b32_e32 v35, 16, v36
	v_and_b32_e32 v34, 0xffff0000, v36
	v_lshlrev_b32_e32 v30, 16, v37
	v_and_b32_e32 v29, 0xffff0000, v37
	;; [unrolled: 2-line block ×4, first 2 shown]
.LBB37_8:
	s_or_b32 exec_lo, exec_lo, s2
	v_dual_mov_b32 v31, 0 :: v_dual_add_nc_u32 v40, s12, v31
	v_mov_b32_e32 v36, 0
	v_dual_mov_b32 v32, 0 :: v_dual_mov_b32 v33, 0
	s_delay_alu instid0(VALU_DEP_3) | instskip(SKIP_3) | instid1(VALU_DEP_4)
	v_lshlrev_b32_e32 v41, 3, v40
	v_dual_mov_b32 v37, 0 :: v_dual_mov_b32 v38, 0
	v_dual_mov_b32 v39, 0 :: v_dual_mov_b32 v42, 0
	v_lshlrev_b32_e32 v67, 4, v40
	v_cmp_gt_u32_e64 s4, s9, v41
	v_mov_b32_e32 v41, 0
	s_and_saveexec_b32 s2, s4
	s_cbranch_execz .LBB37_10
; %bb.9:
	global_load_b128 v[43:46], v67, s[10:11]
	s_wait_loadcnt 0x0
	v_lshlrev_b32_e32 v42, 16, v43
	v_and_b32_e32 v41, 0xffff0000, v43
	v_lshlrev_b32_e32 v39, 16, v44
	v_and_b32_e32 v38, 0xffff0000, v44
	;; [unrolled: 2-line block ×4, first 2 shown]
.LBB37_10:
	s_or_b32 exec_lo, exec_lo, s2
	v_dual_mov_b32 v40, 0 :: v_dual_add_nc_u32 v47, s12, v40
	v_dual_mov_b32 v43, 0 :: v_dual_mov_b32 v44, 0
	v_dual_mov_b32 v46, 0 :: v_dual_mov_b32 v51, 0
	s_delay_alu instid0(VALU_DEP_3) | instskip(SKIP_2) | instid1(VALU_DEP_3)
	v_dual_mov_b32 v45, 0 :: v_dual_lshlrev_b32 v48, 3, v47
	v_mov_b32_e32 v50, 0
	v_lshlrev_b32_e32 v66, 4, v47
	v_cmp_gt_u32_e64 s3, s9, v48
	s_and_saveexec_b32 s2, s3
	s_cbranch_execz .LBB37_12
; %bb.11:
	global_load_b128 v[52:55], v66, s[10:11]
	s_wait_loadcnt 0x0
	v_lshlrev_b32_e32 v51, 16, v52
	v_and_b32_e32 v50, 0xffff0000, v52
	v_lshlrev_b32_e32 v46, 16, v53
	v_and_b32_e32 v45, 0xffff0000, v53
	v_lshlrev_b32_e32 v44, 16, v54
	v_and_b32_e32 v43, 0xffff0000, v54
	v_lshlrev_b32_e32 v40, 16, v55
	v_and_b32_e32 v31, 0xffff0000, v55
.LBB37_12:
	s_or_b32 exec_lo, exec_lo, s2
	v_dual_mov_b32 v47, 0 :: v_dual_add_nc_u32 v56, s12, v47
	v_mov_b32_e32 v52, 0
	v_dual_mov_b32 v48, 0 :: v_dual_mov_b32 v49, 0
	s_delay_alu instid0(VALU_DEP_3) | instskip(SKIP_3) | instid1(VALU_DEP_4)
	v_lshlrev_b32_e32 v57, 3, v56
	v_dual_mov_b32 v53, 0 :: v_dual_mov_b32 v54, 0
	v_dual_mov_b32 v55, 0 :: v_dual_mov_b32 v58, 0
	v_lshlrev_b32_e32 v65, 4, v56
	v_cmp_gt_u32_e64 s2, s9, v57
	v_mov_b32_e32 v57, 0
	s_and_saveexec_b32 s13, s2
	s_cbranch_execz .LBB37_14
; %bb.13:
	global_load_b128 v[59:62], v65, s[10:11]
	s_wait_loadcnt 0x0
	v_lshlrev_b32_e32 v58, 16, v59
	v_and_b32_e32 v57, 0xffff0000, v59
	v_lshlrev_b32_e32 v55, 16, v60
	v_and_b32_e32 v54, 0xffff0000, v60
	;; [unrolled: 2-line block ×4, first 2 shown]
.LBB37_14:
	s_wait_alu 0xfffe
	s_or_b32 exec_lo, exec_lo, s13
	v_dual_mov_b32 v59, 0 :: v_dual_add_nc_u32 v64, s12, v56
	v_dual_mov_b32 v56, 0 :: v_dual_mov_b32 v61, 0
	v_dual_mov_b32 v60, 0 :: v_dual_mov_b32 v63, 0
	s_delay_alu instid0(VALU_DEP_3) | instskip(SKIP_2) | instid1(VALU_DEP_3)
	v_lshlrev_b32_e32 v72, 3, v64
	v_mov_b32_e32 v62, 0
	v_lshlrev_b32_e32 v64, 4, v64
	v_cmp_gt_u32_e32 vcc_lo, s9, v72
	v_mov_b32_e32 v72, 0
	s_and_saveexec_b32 s9, vcc_lo
	s_cbranch_execz .LBB37_16
; %bb.15:
	global_load_b128 v[73:76], v64, s[10:11]
	s_wait_loadcnt 0x0
	v_lshlrev_b32_e32 v72, 16, v73
	v_and_b32_e32 v63, 0xffff0000, v73
	v_lshlrev_b32_e32 v62, 16, v74
	v_and_b32_e32 v61, 0xffff0000, v74
	;; [unrolled: 2-line block ×4, first 2 shown]
.LBB37_16:
	s_wait_alu 0xfffe
	s_or_b32 exec_lo, exec_lo, s9
	v_add_f32_e32 v73, v9, v10
	v_sub_f32_e32 v9, v10, v9
	v_add_f32_e32 v10, v18, v19
	v_sub_f32_e32 v18, v19, v18
	v_add_f32_e32 v19, v25, v26
	v_sub_f32_e32 v25, v26, v25
	v_add_f32_e32 v26, v34, v35
	v_sub_f32_e32 v34, v35, v34
	v_add_f32_e32 v35, v41, v42
	v_sub_f32_e32 v41, v42, v41
	v_add_f32_e32 v42, v50, v51
	v_sub_f32_e32 v50, v51, v50
	v_add_f32_e32 v51, v57, v58
	v_dual_sub_f32 v57, v58, v57 :: v_dual_add_f32 v58, v63, v72
	v_sub_f32_e32 v63, v72, v63
	v_add_f32_e32 v72, v6, v7
	v_sub_f32_e32 v6, v7, v6
	v_add_f32_e32 v7, v13, v14
	;; [unrolled: 2-line block ×16, first 2 shown]
	v_dual_sub_f32 v59, v60, v59 :: v_dual_add_f32 v60, v3, v2
	v_dual_sub_f32 v2, v3, v2 :: v_dual_add_f32 v3, v1, v8
	v_sub_f32_e32 v1, v8, v1
	v_add_f32_e32 v8, v16, v17
	v_sub_f32_e32 v16, v17, v16
	v_add_f32_e32 v17, v15, v24
	;; [unrolled: 2-line block ×7, first 2 shown]
	v_dual_sub_f32 v72, v73, v72 :: v_dual_add_f32 v73, v7, v10
	v_sub_f32_e32 v7, v10, v7
	v_add_f32_e32 v10, v14, v19
	v_sub_f32_e32 v14, v19, v14
	v_add_f32_e32 v19, v23, v26
	;; [unrolled: 2-line block ×15, first 2 shown]
	v_sub_f32_e32 v60, v62, v60
	v_dual_add_f32 v62, v3, v5 :: v_dual_sub_f32 v3, v5, v3
	v_add_f32_e32 v5, v8, v12
	v_sub_f32_e32 v8, v12, v8
	v_add_f32_e32 v12, v17, v21
	v_sub_f32_e32 v17, v21, v17
	;; [unrolled: 2-line block ×7, first 2 shown]
	v_dual_add_f32 v4, v1, v11 :: v_dual_sub_f32 v11, v11, v1
	v_add_f32_e32 v1, v16, v20
	v_sub_f32_e32 v16, v20, v16
	v_add_f32_e32 v20, v15, v27
	v_sub_f32_e32 v15, v27, v15
	;; [unrolled: 2-line block ×6, first 2 shown]
	v_add_f32_e32 v59, v56, v63
	v_dual_sub_f32 v56, v56, v63 :: v_dual_add_f32 v63, v62, v73
	v_sub_f32_e32 v62, v73, v62
	v_add_f32_e32 v73, v5, v10
	v_dual_sub_f32 v5, v10, v5 :: v_dual_add_f32 v10, v12, v19
	v_dual_sub_f32 v12, v19, v12 :: v_dual_add_f32 v19, v21, v26
	;; [unrolled: 1-line block ×6, first 2 shown]
	v_sub_f32_e32 v53, v58, v53
	v_add_f32_e32 v74, v20, v25
	v_dual_sub_f32 v20, v25, v20 :: v_dual_add_f32 v25, v27, v34
	v_dual_sub_f32 v27, v34, v27 :: v_dual_add_f32 v34, v36, v41
	;; [unrolled: 1-line block ×4, first 2 shown]
	v_sub_f32_e32 v52, v57, v52
	v_add_f32_e32 v57, v72, v60
	v_sub_f32_e32 v60, v72, v60
	v_add_f32_e32 v72, v3, v7
	v_sub_f32_e32 v7, v7, v3
	v_mbcnt_lo_u32_b32 v3, -1, 0
	v_add_f32_e32 v58, v4, v9
	v_sub_f32_e32 v4, v9, v4
	v_dual_add_f32 v9, v1, v18 :: v_dual_sub_f32 v18, v18, v1
	s_delay_alu instid0(VALU_DEP_4) | instskip(SKIP_3) | instid1(VALU_DEP_3)
	v_xor_b32_e32 v1, 1, v3
	s_load_b32 s16, s[0:1], 0x20
	v_dual_add_f32 v75, v8, v14 :: v_dual_sub_f32 v8, v14, v8
	v_dual_add_f32 v14, v17, v23 :: v_dual_sub_f32 v17, v23, v17
	v_cmp_gt_i32_e64 s0, 32, v1
	v_dual_add_f32 v23, v24, v30 :: v_dual_sub_f32 v24, v30, v24
	v_dual_add_f32 v30, v33, v39 :: v_dual_sub_f32 v33, v39, v33
	s_delay_alu instid0(VALU_DEP_3) | instskip(SKIP_3) | instid1(VALU_DEP_4)
	v_cndmask_b32_e64 v1, v3, v1, s0
	v_dual_add_f32 v39, v40, v46 :: v_dual_sub_f32 v40, v46, v40
	v_dual_add_f32 v46, v49, v55 :: v_dual_sub_f32 v49, v55, v49
	v_add_f32_e32 v55, v6, v2
	v_dual_sub_f32 v2, v6, v2 :: v_dual_lshlrev_b32 v1, 2, v1
	v_dual_add_f32 v6, v11, v13 :: v_dual_sub_f32 v11, v13, v11
	v_dual_add_f32 v13, v16, v22 :: v_dual_sub_f32 v16, v22, v16
	ds_bpermute_b32 v76, v1, v59
	v_and_b32_e32 v22, 1, v0
	ds_bpermute_b32 v77, v1, v51
	ds_bpermute_b32 v82, v1, v60
	v_dual_add_f32 v78, v15, v29 :: v_dual_sub_f32 v15, v29, v15
	v_cmp_eq_u32_e64 s1, 0, v22
	v_dual_add_f32 v22, v31, v45 :: v_dual_sub_f32 v31, v45, v31
	v_dual_add_f32 v29, v32, v38 :: v_dual_sub_f32 v32, v38, v32
	s_wait_alu 0xf1ff
	s_delay_alu instid0(VALU_DEP_3)
	v_cndmask_b32_e64 v45, -v59, v59, s1
	ds_bpermute_b32 v59, v1, v57
	v_add_f32_e32 v38, v48, v54
	v_cndmask_b32_e64 v51, -v51, v51, s1
	ds_bpermute_b32 v79, v1, v55
	ds_bpermute_b32 v80, v1, v56
	;; [unrolled: 1-line block ×3, first 2 shown]
	v_sub_f32_e32 v48, v54, v48
	s_wait_dscnt 0x6
	v_dual_add_f32 v54, v47, v61 :: v_dual_add_f32 v45, v45, v76
	v_sub_f32_e32 v47, v61, v47
	ds_bpermute_b32 v61, v1, v2
	ds_bpermute_b32 v76, v1, v63
	v_cndmask_b32_e64 v57, -v57, v57, s1
	v_cndmask_b32_e64 v60, -v60, v60, s1
	s_wait_dscnt 0x7
	v_add_f32_e32 v51, v51, v77
	v_cndmask_b32_e64 v55, -v55, v55, s1
	v_cndmask_b32_e64 v56, -v56, v56, s1
	;; [unrolled: 1-line block ×3, first 2 shown]
	ds_bpermute_b32 v77, v1, v58
	ds_bpermute_b32 v83, v1, v72
	;; [unrolled: 1-line block ×3, first 2 shown]
	s_wait_dscnt 0x8
	v_add_f32_e32 v57, v57, v59
	v_cndmask_b32_e64 v2, -v2, v2, s1
	v_cndmask_b32_e64 v58, -v58, v58, s1
	v_add_f32_e32 v59, v60, v82
	v_cndmask_b32_e64 v60, -v63, v63, s1
	v_cndmask_b32_e64 v63, -v72, v72, s1
	ds_bpermute_b32 v72, v1, v62
	s_wait_dscnt 0x7
	v_dual_add_f32 v55, v55, v79 :: v_dual_add_f32 v56, v56, v80
	v_cndmask_b32_e64 v6, -v6, v6, s1
	s_wait_dscnt 0x6
	v_add_f32_e32 v53, v53, v81
	ds_bpermute_b32 v79, v1, v4
	ds_bpermute_b32 v80, v1, v7
	;; [unrolled: 1-line block ×4, first 2 shown]
	s_wait_dscnt 0x8
	v_add_f32_e32 v60, v60, v76
	v_cndmask_b32_e64 v4, -v4, v4, s1
	v_add_f32_e32 v61, v2, v61
	v_cndmask_b32_e64 v2, -v62, v62, s1
	v_cndmask_b32_e64 v62, -v73, v73, s1
	ds_bpermute_b32 v73, v1, v9
	ds_bpermute_b32 v76, v1, v75
	s_wait_dscnt 0x8
	v_dual_add_f32 v58, v58, v77 :: v_dual_add_f32 v63, v63, v83
	s_wait_dscnt 0x7
	v_add_f32_e32 v6, v6, v84
	v_cndmask_b32_e64 v7, -v7, v7, s1
	v_cndmask_b32_e64 v11, -v11, v11, s1
	ds_bpermute_b32 v77, v1, v13
	ds_bpermute_b32 v84, v1, v18
	s_wait_dscnt 0x8
	v_add_f32_e32 v72, v2, v72
	v_cndmask_b32_e64 v2, -v9, v9, s1
	v_cndmask_b32_e64 v9, -v75, v75, s1
	ds_bpermute_b32 v75, v1, v8
	ds_bpermute_b32 v83, v1, v5
	s_wait_dscnt 0x8
	v_dual_add_f32 v4, v4, v79 :: v_dual_add_f32 v7, v7, v80
	s_wait_dscnt 0x6
	v_add_f32_e32 v62, v62, v82
	v_cndmask_b32_e64 v18, -v18, v18, s1
	v_add_f32_e32 v11, v11, v81
	ds_bpermute_b32 v79, v1, v16
	ds_bpermute_b32 v80, v1, v10
	;; [unrolled: 1-line block ×3, first 2 shown]
	s_wait_dscnt 0x8
	v_add_f32_e32 v73, v2, v73
	v_cndmask_b32_e64 v2, -v8, v8, s1
	v_cndmask_b32_e64 v8, -v16, v16, s1
	;; [unrolled: 1-line block ×3, first 2 shown]
	s_wait_dscnt 0x7
	v_add_f32_e32 v9, v9, v76
	ds_bpermute_b32 v76, v1, v12
	v_cndmask_b32_e64 v13, -v13, v13, s1
	ds_bpermute_b32 v82, v1, v14
	ds_bpermute_b32 v74, v1, v78
	v_cndmask_b32_e64 v5, -v5, v5, s1
	s_wait_dscnt 0x8
	v_add_f32_e32 v18, v18, v84
	v_cndmask_b32_e64 v10, -v10, v10, s1
	v_add_f32_e32 v13, v13, v77
	ds_bpermute_b32 v77, v1, v20
	ds_bpermute_b32 v84, v1, v15
	v_cndmask_b32_e64 v12, -v12, v12, s1
	s_wait_dscnt 0x9
	v_add_f32_e32 v75, v2, v75
	v_cndmask_b32_e64 v2, -v78, v78, s1
	ds_bpermute_b32 v78, v1, v19
	v_cndmask_b32_e64 v14, -v14, v14, s1
	s_wait_dscnt 0x9
	v_add_f32_e32 v5, v5, v83
	ds_bpermute_b32 v83, v1, v17
	s_wait_dscnt 0x9
	v_add_f32_e32 v8, v8, v79
	s_wait_dscnt 0x8
	v_add_f32_e32 v10, v10, v80
	;; [unrolled: 2-line block ×3, first 2 shown]
	ds_bpermute_b32 v79, v1, v25
	ds_bpermute_b32 v80, v1, v23
	ds_bpermute_b32 v81, v1, v29
	s_wait_dscnt 0x9
	v_add_f32_e32 v12, v12, v76
	ds_bpermute_b32 v76, v1, v24
	s_wait_dscnt 0x9
	v_add_f32_e32 v14, v14, v82
	v_cndmask_b32_e64 v20, -v20, v20, s1
	v_cndmask_b32_e64 v17, -v17, v17, s1
	;; [unrolled: 1-line block ×3, first 2 shown]
	ds_bpermute_b32 v82, v1, v21
	s_wait_dscnt 0x9
	v_add_f32_e32 v74, v2, v74
	v_cndmask_b32_e64 v2, -v19, v19, s1
	v_cndmask_b32_e64 v19, -v25, v25, s1
	;; [unrolled: 1-line block ×3, first 2 shown]
	ds_bpermute_b32 v29, v1, v27
	s_wait_dscnt 0x8
	v_dual_add_f32 v20, v20, v77 :: v_dual_add_f32 v15, v15, v84
	v_cndmask_b32_e64 v23, -v23, v23, s1
	ds_bpermute_b32 v77, v1, v32
	ds_bpermute_b32 v84, v1, v34
	s_wait_dscnt 0x7
	v_dual_add_f32 v78, v2, v78 :: v_dual_add_f32 v19, v19, v79
	v_cndmask_b32_e64 v2, -v27, v27, s1
	v_cndmask_b32_e64 v24, -v24, v24, s1
	;; [unrolled: 1-line block ×4, first 2 shown]
	ds_bpermute_b32 v34, v1, v30
	v_add_f32_e32 v17, v17, v83
	ds_bpermute_b32 v83, v1, v26
	s_wait_dscnt 0x6
	v_dual_add_f32 v25, v25, v81 :: v_dual_add_f32 v24, v24, v76
	v_cndmask_b32_e64 v26, -v26, v26, s1
	v_add_f32_e32 v23, v23, v80
	ds_bpermute_b32 v79, v1, v22
	ds_bpermute_b32 v80, v1, v28
	ds_bpermute_b32 v81, v1, v36
	ds_bpermute_b32 v76, v1, v35
	v_cndmask_b32_e64 v21, -v21, v21, s1
	v_cndmask_b32_e64 v28, -v28, v28, s1
	s_wait_dscnt 0x8
	v_add_f32_e32 v29, v2, v29
	v_cndmask_b32_e64 v2, -v30, v30, s1
	v_cndmask_b32_e64 v30, -v36, v36, s1
	s_wait_dscnt 0x6
	v_dual_add_f32 v21, v21, v82 :: v_dual_add_f32 v32, v32, v84
	ds_bpermute_b32 v82, v1, v33
	ds_bpermute_b32 v36, v1, v31
	s_wait_dscnt 0x7
	v_dual_add_f32 v27, v27, v77 :: v_dual_add_f32 v34, v2, v34
	v_cndmask_b32_e64 v22, -v22, v22, s1
	ds_bpermute_b32 v77, v1, v41
	v_cndmask_b32_e64 v2, -v31, v31, s1
	v_cndmask_b32_e64 v31, -v35, v35, s1
	;; [unrolled: 1-line block ×3, first 2 shown]
	s_wait_dscnt 0x6
	v_add_f32_e32 v22, v22, v79
	s_wait_dscnt 0x5
	v_add_f32_e32 v28, v28, v80
	s_wait_dscnt 0x3
	v_dual_add_f32 v30, v30, v81 :: v_dual_add_f32 v31, v31, v76
	ds_bpermute_b32 v35, v1, v37
	ds_bpermute_b32 v79, v1, v43
	;; [unrolled: 1-line block ×5, first 2 shown]
	v_cndmask_b32_e64 v41, -v41, v41, s1
	v_cndmask_b32_e64 v43, -v43, v43, s1
	s_wait_dscnt 0x7
	v_add_f32_e32 v33, v33, v82
	ds_bpermute_b32 v82, v1, v42
	s_wait_dscnt 0x7
	v_add_f32_e32 v36, v2, v36
	v_cndmask_b32_e64 v2, -v37, v37, s1
	ds_bpermute_b32 v37, v1, v50
	s_wait_dscnt 0x7
	v_add_f32_e32 v41, v41, v77
	v_cndmask_b32_e64 v40, -v40, v40, s1
	v_cndmask_b32_e64 v48, -v48, v48, s1
	v_xor_b32_e32 v77, 2, v3
	v_cndmask_b32_e64 v46, -v46, v46, s1
	v_add_f32_e32 v26, v26, v83
	ds_bpermute_b32 v83, v1, v39
	ds_bpermute_b32 v84, v1, v38
	s_wait_dscnt 0x8
	v_add_f32_e32 v35, v2, v35
	s_wait_dscnt 0x6
	v_dual_add_f32 v43, v43, v79 :: v_dual_add_f32 v40, v40, v80
	s_wait_dscnt 0x5
	v_add_f32_e32 v48, v48, v81
	v_cndmask_b32_e64 v2, -v50, v50, s1
	ds_bpermute_b32 v50, v1, v54
	ds_bpermute_b32 v79, v1, v44
	;; [unrolled: 1-line block ×4, first 2 shown]
	v_cmp_gt_i32_e64 s0, 32, v77
	v_cndmask_b32_e64 v49, -v49, v49, s1
	s_wait_dscnt 0x8
	v_add_f32_e32 v46, v46, v76
	ds_bpermute_b32 v76, v1, v47
	v_cndmask_b32_e64 v42, -v42, v42, s1
	s_wait_alu 0xf1ff
	v_cndmask_b32_e64 v77, v3, v77, s0
	v_cndmask_b32_e64 v44, -v44, v44, s1
	s_wait_dscnt 0x7
	v_add_f32_e32 v37, v2, v37
	v_cndmask_b32_e64 v47, -v47, v47, s1
	v_add_f32_e32 v42, v42, v82
	v_lshlrev_b32_e32 v2, 2, v77
	v_and_b32_e32 v77, 2, v0
	v_cndmask_b32_e64 v39, -v39, v39, s1
	v_cndmask_b32_e64 v38, -v38, v38, s1
	v_cndmask_b32_e64 v54, -v54, v54, s1
	v_cndmask_b32_e64 v52, -v52, v52, s1
	v_cmp_eq_u32_e64 s9, 0, v77
	s_wait_dscnt 0x5
	v_dual_add_f32 v39, v39, v83 :: v_dual_add_f32 v38, v38, v84
	s_wait_dscnt 0x1
	v_dual_add_f32 v44, v44, v79 :: v_dual_add_f32 v49, v49, v81
	s_wait_dscnt 0x0
	s_barrier_signal -1
	v_add_f32_e32 v47, v47, v76
	ds_bpermute_b32 v82, v2, v45
	ds_bpermute_b32 v83, v2, v51
	;; [unrolled: 1-line block ×4, first 2 shown]
	s_wait_alu 0xf1ff
	v_cndmask_b32_e64 v45, -v45, v45, s9
	v_add_f32_e32 v52, v52, v80
	v_cndmask_b32_e64 v51, -v51, v51, s9
	v_add_f32_e32 v50, v54, v50
	v_cndmask_b32_e64 v54, -v57, v57, s9
	ds_bpermute_b32 v57, v2, v56
	ds_bpermute_b32 v77, v2, v53
	ds_bpermute_b32 v79, v2, v59
	ds_bpermute_b32 v80, v2, v61
	v_cndmask_b32_e64 v55, -v55, v55, s9
	v_cndmask_b32_e64 v56, -v56, v56, s9
	;; [unrolled: 1-line block ×5, first 2 shown]
	ds_bpermute_b32 v76, v2, v58
	ds_bpermute_b32 v81, v2, v60
	s_wait_dscnt 0x9
	v_add_f32_e32 v45, v45, v82
	s_wait_dscnt 0x7
	v_dual_add_f32 v51, v51, v83 :: v_dual_add_f32 v54, v54, v84
	s_wait_dscnt 0x6
	v_add_f32_e32 v55, v55, v85
	v_cndmask_b32_e64 v60, -v60, v60, s9
	ds_bpermute_b32 v82, v2, v63
	ds_bpermute_b32 v83, v2, v6
	;; [unrolled: 1-line block ×4, first 2 shown]
	s_wait_dscnt 0x9
	v_add_f32_e32 v56, v56, v57
	v_cndmask_b32_e64 v58, -v58, v58, s9
	s_wait_dscnt 0x8
	v_add_f32_e32 v53, v53, v77
	s_wait_dscnt 0x7
	v_add_f32_e32 v57, v59, v79
	;; [unrolled: 2-line block ×3, first 2 shown]
	v_cndmask_b32_e64 v61, -v63, v63, s9
	v_cndmask_b32_e64 v63, -v72, v72, s9
	ds_bpermute_b32 v72, v2, v7
	ds_bpermute_b32 v77, v2, v11
	;; [unrolled: 1-line block ×4, first 2 shown]
	v_cndmask_b32_e64 v6, -v6, v6, s9
	v_cndmask_b32_e64 v4, -v4, v4, s9
	s_wait_dscnt 0x9
	v_add_f32_e32 v58, v58, v76
	v_cndmask_b32_e64 v7, -v7, v7, s9
	v_cndmask_b32_e64 v11, -v11, v11, s9
	;; [unrolled: 1-line block ×4, first 2 shown]
	ds_bpermute_b32 v76, v2, v13
	s_wait_dscnt 0x9
	v_add_f32_e32 v60, v60, v81
	ds_bpermute_b32 v81, v2, v9
	s_wait_dscnt 0x8
	v_dual_add_f32 v61, v61, v82 :: v_dual_add_f32 v6, v6, v83
	s_wait_dscnt 0x6
	v_dual_add_f32 v63, v63, v84 :: v_dual_add_f32 v4, v4, v85
	ds_bpermute_b32 v82, v2, v5
	ds_bpermute_b32 v83, v2, v18
	;; [unrolled: 1-line block ×4, first 2 shown]
	s_wait_dscnt 0x7
	v_dual_add_f32 v7, v7, v72 :: v_dual_add_f32 v62, v62, v79
	s_wait_dscnt 0x6
	v_dual_add_f32 v11, v11, v77 :: v_dual_add_f32 v72, v73, v80
	v_cndmask_b32_e64 v73, -v75, v75, s9
	ds_bpermute_b32 v75, v2, v10
	ds_bpermute_b32 v77, v2, v16
	;; [unrolled: 1-line block ×3, first 2 shown]
	v_cndmask_b32_e64 v13, -v13, v13, s9
	v_cndmask_b32_e64 v9, -v9, v9, s9
	;; [unrolled: 1-line block ×5, first 2 shown]
	ds_bpermute_b32 v80, v2, v74
	s_wait_dscnt 0x9
	v_add_f32_e32 v13, v13, v76
	v_cndmask_b32_e64 v10, -v10, v10, s9
	v_cndmask_b32_e64 v16, -v16, v16, s9
	;; [unrolled: 1-line block ×3, first 2 shown]
	ds_bpermute_b32 v76, v2, v20
	s_wait_dscnt 0x7
	v_dual_add_f32 v9, v9, v81 :: v_dual_add_f32 v18, v18, v83
	ds_bpermute_b32 v81, v2, v12
	v_add_f32_e32 v5, v5, v82
	s_wait_dscnt 0x6
	v_dual_add_f32 v73, v73, v84 :: v_dual_add_f32 v8, v8, v85
	v_cndmask_b32_e64 v74, -v74, v74, s9
	ds_bpermute_b32 v82, v2, v17
	ds_bpermute_b32 v83, v2, v15
	;; [unrolled: 1-line block ×4, first 2 shown]
	s_wait_dscnt 0x8
	v_dual_add_f32 v10, v10, v75 :: v_dual_add_f32 v75, v16, v77
	s_wait_dscnt 0x7
	v_add_f32_e32 v14, v14, v79
	ds_bpermute_b32 v77, v2, v23
	ds_bpermute_b32 v79, v2, v21
	v_cndmask_b32_e64 v16, -v20, v20, s9
	v_cndmask_b32_e64 v20, -v78, v78, s9
	ds_bpermute_b32 v78, v2, v25
	v_cndmask_b32_e64 v12, -v12, v12, s9
	s_wait_dscnt 0x9
	v_add_f32_e32 v74, v74, v80
	v_cndmask_b32_e64 v17, -v17, v17, s9
	v_cndmask_b32_e64 v15, -v15, v15, s9
	;; [unrolled: 1-line block ×3, first 2 shown]
	ds_bpermute_b32 v80, v2, v29
	s_wait_dscnt 0x9
	v_add_f32_e32 v76, v16, v76
	v_cndmask_b32_e64 v16, -v23, v23, s9
	v_cndmask_b32_e64 v23, -v25, v25, s9
	;; [unrolled: 1-line block ×4, first 2 shown]
	ds_bpermute_b32 v29, v2, v27
	s_wait_dscnt 0x8
	v_dual_add_f32 v12, v12, v81 :: v_dual_add_f32 v17, v17, v82
	ds_bpermute_b32 v81, v2, v24
	s_wait_dscnt 0x7
	v_dual_add_f32 v15, v15, v83 :: v_dual_add_f32 v20, v20, v84
	s_wait_dscnt 0x6
	v_add_f32_e32 v19, v19, v85
	ds_bpermute_b32 v82, v2, v26
	ds_bpermute_b32 v83, v2, v32
	;; [unrolled: 1-line block ×4, first 2 shown]
	v_cndmask_b32_e64 v26, -v26, v26, s9
	s_wait_dscnt 0x9
	v_add_f32_e32 v77, v16, v77
	v_cndmask_b32_e64 v16, -v27, v27, s9
	v_cndmask_b32_e64 v27, -v32, v32, s9
	;; [unrolled: 1-line block ×3, first 2 shown]
	s_wait_dscnt 0x8
	v_add_f32_e32 v21, v21, v79
	ds_bpermute_b32 v79, v2, v33
	v_cndmask_b32_e64 v24, -v24, v24, s9
	s_wait_dscnt 0x8
	v_add_f32_e32 v23, v23, v78
	ds_bpermute_b32 v78, v2, v30
	ds_bpermute_b32 v34, v2, v28
	v_cndmask_b32_e64 v22, -v22, v22, s9
	s_wait_dscnt 0x8
	v_add_f32_e32 v29, v16, v29
	v_cndmask_b32_e64 v16, -v28, v28, s9
	v_cndmask_b32_e64 v28, -v30, v30, s9
	;; [unrolled: 1-line block ×3, first 2 shown]
	s_wait_dscnt 0x7
	v_dual_add_f32 v25, v25, v80 :: v_dual_add_f32 v24, v24, v81
	ds_bpermute_b32 v80, v2, v36
	ds_bpermute_b32 v81, v2, v31
	s_wait_dscnt 0x8
	v_add_f32_e32 v26, v26, v82
	s_wait_dscnt 0x5
	v_add_f32_e32 v22, v22, v85
	ds_bpermute_b32 v33, v2, v41
	ds_bpermute_b32 v82, v2, v39
	;; [unrolled: 1-line block ×3, first 2 shown]
	v_add_f32_e32 v27, v27, v83
	s_wait_dscnt 0x7
	v_add_f32_e32 v30, v30, v79
	ds_bpermute_b32 v79, v2, v42
	v_add_f32_e32 v32, v32, v84
	ds_bpermute_b32 v83, v2, v38
	ds_bpermute_b32 v84, v2, v35
	v_cndmask_b32_e64 v31, -v31, v31, s9
	s_wait_dscnt 0x9
	v_add_f32_e32 v28, v28, v78
	ds_bpermute_b32 v78, v2, v48
	s_wait_dscnt 0x9
	v_add_f32_e32 v34, v16, v34
	v_cndmask_b32_e64 v16, -v41, v41, s9
	ds_bpermute_b32 v41, v2, v40
	v_cndmask_b32_e64 v36, -v36, v36, s9
	v_cndmask_b32_e64 v39, -v39, v39, s9
	;; [unrolled: 1-line block ×4, first 2 shown]
	s_wait_dscnt 0x8
	v_dual_add_f32 v31, v31, v81 :: v_dual_add_f32 v36, v36, v80
	s_wait_dscnt 0x6
	v_add_f32_e32 v39, v39, v82
	v_cndmask_b32_e64 v38, -v38, v38, s9
	v_cndmask_b32_e64 v35, -v35, v35, s9
	v_add_f32_e32 v33, v16, v33
	s_wait_dscnt 0x4
	v_dual_add_f32 v43, v43, v85 :: v_dual_add_f32 v42, v42, v79
	v_cndmask_b32_e64 v16, -v40, v40, s9
	v_cndmask_b32_e64 v40, -v48, v48, s9
	ds_bpermute_b32 v48, v2, v37
	ds_bpermute_b32 v80, v2, v46
	;; [unrolled: 1-line block ×3, first 2 shown]
	v_xor_b32_e32 v82, 4, v3
	ds_bpermute_b32 v79, v2, v49
	s_wait_dscnt 0x6
	v_dual_add_f32 v38, v38, v83 :: v_dual_add_f32 v35, v35, v84
	s_wait_dscnt 0x5
	v_add_f32_e32 v40, v40, v78
	ds_bpermute_b32 v83, v2, v44
	v_cmp_gt_i32_e64 s0, 32, v82
	ds_bpermute_b32 v78, v2, v52
	s_wait_dscnt 0x6
	v_add_f32_e32 v41, v16, v41
	v_cndmask_b32_e64 v37, -v37, v37, s9
	v_cndmask_b32_e64 v46, -v46, v46, s9
	s_wait_alu 0xf1ff
	v_cndmask_b32_e64 v16, v3, v82, s0
	v_cndmask_b32_e64 v50, -v50, v50, s9
	v_cndmask_b32_e64 v49, -v49, v49, s9
	v_and_b32_e32 v84, 4, v0
	v_cndmask_b32_e64 v44, -v44, v44, s9
	v_lshlrev_b32_e32 v16, 2, v16
	ds_bpermute_b32 v82, v2, v47
	s_wait_dscnt 0x4
	v_dual_add_f32 v37, v37, v48 :: v_dual_add_f32 v48, v50, v81
	v_cndmask_b32_e64 v50, -v52, v52, s9
	ds_bpermute_b32 v85, v16, v45
	ds_bpermute_b32 v86, v16, v51
	v_cndmask_b32_e64 v47, -v47, v47, s9
	v_add_f32_e32 v46, v46, v80
	ds_bpermute_b32 v52, v16, v54
	ds_bpermute_b32 v80, v16, v55
	;; [unrolled: 1-line block ×3, first 2 shown]
	s_wait_dscnt 0x8
	v_add_f32_e32 v49, v49, v79
	v_cmp_eq_u32_e64 s0, 0, v84
	ds_bpermute_b32 v84, v16, v57
	ds_bpermute_b32 v79, v16, v60
	s_barrier_wait -1
	s_wait_dscnt 0x0
	global_inv scope:SCOPE_SE
	s_wait_alu 0xf1ff
	v_cndmask_b32_e64 v45, -v45, v45, s0
	v_add_f32_e32 v44, v44, v83
	ds_bpermute_b32 v83, v16, v53
	v_cndmask_b32_e64 v56, -v56, v56, s0
	v_add_f32_e32 v50, v50, v78
	ds_bpermute_b32 v78, v16, v59
	v_cndmask_b32_e64 v51, -v51, v51, s0
	v_cndmask_b32_e64 v54, -v54, v54, s0
	;; [unrolled: 1-line block ×4, first 2 shown]
	v_add_f32_e32 v47, v47, v82
	v_add_f32_e32 v45, v45, v85
	v_dual_add_f32 v51, v51, v86 :: v_dual_add_f32 v52, v54, v52
	v_cndmask_b32_e64 v53, -v53, v53, s0
	ds_bpermute_b32 v82, v16, v58
	ds_bpermute_b32 v85, v16, v61
	v_dual_add_f32 v54, v55, v80 :: v_dual_add_f32 v55, v56, v81
	v_add_f32_e32 v56, v57, v84
	v_cndmask_b32_e64 v57, -v59, v59, s0
	v_cndmask_b32_e64 v59, -v60, v60, s0
	;; [unrolled: 1-line block ×3, first 2 shown]
	ds_bpermute_b32 v61, v16, v63
	ds_bpermute_b32 v86, v16, v6
	s_wait_dscnt 0x5
	v_add_f32_e32 v53, v53, v83
	ds_bpermute_b32 v80, v16, v4
	ds_bpermute_b32 v81, v16, v7
	;; [unrolled: 1-line block ×4, first 2 shown]
	s_wait_dscnt 0x8
	v_add_f32_e32 v57, v57, v78
	v_add_f32_e32 v59, v59, v79
	ds_bpermute_b32 v78, v16, v72
	ds_bpermute_b32 v79, v16, v9
	v_cndmask_b32_e64 v58, -v58, v58, s0
	v_cndmask_b32_e64 v63, -v63, v63, s0
	v_cndmask_b32_e64 v6, -v6, v6, s0
	v_cndmask_b32_e64 v4, -v4, v4, s0
	v_cndmask_b32_e64 v7, -v7, v7, s0
	s_wait_dscnt 0x9
	v_add_f32_e32 v58, v58, v82
	v_cndmask_b32_e64 v11, -v11, v11, s0
	v_cndmask_b32_e64 v62, -v62, v62, s0
	v_cndmask_b32_e64 v9, -v9, v9, s0
	s_wait_dscnt 0x7
	v_add_f32_e32 v61, v63, v61
	v_cndmask_b32_e64 v63, -v72, v72, s0
	v_add_f32_e32 v60, v60, v85
	s_wait_dscnt 0x4
	v_dual_add_f32 v6, v6, v86 :: v_dual_add_f32 v7, v7, v81
	ds_bpermute_b32 v82, v16, v13
	ds_bpermute_b32 v85, v16, v5
	;; [unrolled: 1-line block ×3, first 2 shown]
	s_wait_dscnt 0x6
	v_dual_add_f32 v4, v4, v80 :: v_dual_add_f32 v11, v11, v83
	s_wait_dscnt 0x4
	v_dual_add_f32 v62, v62, v84 :: v_dual_add_f32 v63, v63, v78
	v_cndmask_b32_e64 v18, -v18, v18, s0
	ds_bpermute_b32 v72, v16, v73
	ds_bpermute_b32 v80, v16, v8
	;; [unrolled: 1-line block ×5, first 2 shown]
	s_wait_dscnt 0x8
	v_add_f32_e32 v9, v9, v79
	ds_bpermute_b32 v78, v16, v74
	ds_bpermute_b32 v79, v16, v12
	v_cndmask_b32_e64 v13, -v13, v13, s0
	v_cndmask_b32_e64 v5, -v5, v5, s0
	v_cndmask_b32_e64 v73, -v73, v73, s0
	v_cndmask_b32_e64 v8, -v8, v8, s0
	v_cndmask_b32_e64 v10, -v10, v10, s0
	v_cndmask_b32_e64 v75, -v75, v75, s0
	v_cndmask_b32_e64 v14, -v14, v14, s0
	v_cndmask_b32_e64 v74, -v74, v74, s0
	v_cndmask_b32_e64 v12, -v12, v12, s0
	s_wait_dscnt 0x9
	v_add_f32_e32 v13, v13, v82
	s_wait_dscnt 0x7
	v_dual_add_f32 v5, v5, v85 :: v_dual_add_f32 v18, v18, v86
	ds_bpermute_b32 v82, v16, v76
	ds_bpermute_b32 v85, v16, v17
	;; [unrolled: 1-line block ×3, first 2 shown]
	s_wait_dscnt 0x6
	v_dual_add_f32 v72, v73, v72 :: v_dual_add_f32 v73, v75, v83
	v_add_f32_e32 v8, v8, v80
	s_wait_dscnt 0x5
	v_add_f32_e32 v14, v14, v84
	v_cndmask_b32_e64 v75, -v76, v76, s0
	v_add_f32_e32 v10, v10, v81
	v_cndmask_b32_e64 v17, -v17, v17, s0
	v_cndmask_b32_e64 v15, -v15, v15, s0
	ds_bpermute_b32 v76, v16, v20
	ds_bpermute_b32 v80, v16, v19
	;; [unrolled: 1-line block ×4, first 2 shown]
	s_wait_dscnt 0x8
	v_add_f32_e32 v74, v74, v78
	s_wait_dscnt 0x7
	v_add_f32_e32 v12, v12, v79
	ds_bpermute_b32 v78, v16, v25
	ds_bpermute_b32 v79, v16, v24
	ds_bpermute_b32 v83, v16, v23
	v_cndmask_b32_e64 v20, -v20, v20, s0
	v_cndmask_b32_e64 v19, -v19, v19, s0
	;; [unrolled: 1-line block ×6, first 2 shown]
	s_wait_dscnt 0x9
	v_add_f32_e32 v75, v75, v82
	s_wait_dscnt 0x8
	v_add_f32_e32 v17, v17, v85
	;; [unrolled: 2-line block ×3, first 2 shown]
	v_cndmask_b32_e64 v23, -v23, v23, s0
	ds_bpermute_b32 v82, v16, v29
	ds_bpermute_b32 v85, v16, v26
	;; [unrolled: 1-line block ×3, first 2 shown]
	s_wait_dscnt 0x9
	v_add_f32_e32 v20, v20, v76
	s_wait_dscnt 0x7
	v_dual_add_f32 v19, v19, v80 :: v_dual_add_f32 v76, v77, v81
	s_wait_dscnt 0x6
	v_add_f32_e32 v21, v21, v84
	ds_bpermute_b32 v80, v16, v22
	ds_bpermute_b32 v81, v16, v34
	v_cndmask_b32_e64 v26, -v26, v26, s0
	s_wait_dscnt 0x6
	v_dual_add_f32 v25, v25, v78 :: v_dual_add_f32 v24, v24, v79
	ds_bpermute_b32 v78, v16, v30
	ds_bpermute_b32 v79, v16, v36
	s_wait_dscnt 0x7
	v_add_f32_e32 v23, v23, v83
	v_cndmask_b32_e64 v29, -v29, v29, s0
	ds_bpermute_b32 v77, v16, v32
	ds_bpermute_b32 v83, v16, v28
	v_cndmask_b32_e64 v27, -v27, v27, s0
	v_cndmask_b32_e64 v22, -v22, v22, s0
	v_cndmask_b32_e64 v34, -v34, v34, s0
	v_cndmask_b32_e64 v30, -v30, v30, s0
	v_cndmask_b32_e64 v36, -v36, v36, s0
	s_wait_dscnt 0x6
	v_dual_add_f32 v26, v26, v85 :: v_dual_add_f32 v27, v27, v86
	v_cndmask_b32_e64 v32, -v32, v32, s0
	v_add_f32_e32 v29, v29, v82
	ds_bpermute_b32 v82, v16, v31
	ds_bpermute_b32 v85, v16, v39
	s_wait_dscnt 0x7
	v_add_f32_e32 v22, v22, v80
	ds_bpermute_b32 v80, v16, v35
	v_cndmask_b32_e64 v31, -v31, v31, s0
	s_wait_dscnt 0x7
	v_add_f32_e32 v34, v34, v81
	ds_bpermute_b32 v81, v16, v43
	v_cndmask_b32_e64 v39, -v39, v39, s0
	;; [unrolled: 4-line block ×4, first 2 shown]
	ds_bpermute_b32 v84, v16, v33
	s_wait_dscnt 0x8
	v_add_f32_e32 v32, v32, v77
	ds_bpermute_b32 v77, v16, v38
	v_cndmask_b32_e64 v33, -v33, v33, s0
	s_wait_dscnt 0x8
	v_add_f32_e32 v28, v28, v83
	ds_bpermute_b32 v83, v16, v41
	v_cndmask_b32_e64 v43, -v43, v43, s0
	v_cndmask_b32_e64 v42, -v42, v42, s0
	;; [unrolled: 1-line block ×3, first 2 shown]
	ds_bpermute_b32 v86, v16, v40
	v_cndmask_b32_e64 v40, -v40, v40, s0
	v_cndmask_b32_e64 v38, -v38, v38, s0
	s_wait_dscnt 0x6
	v_add_f32_e32 v43, v43, v81
	v_xor_b32_e32 v81, 8, v3
	v_cndmask_b32_e64 v41, -v41, v41, s0
	s_wait_dscnt 0x5
	v_add_f32_e32 v42, v42, v78
	v_add_f32_e32 v31, v31, v82
	v_add_f32_e32 v35, v35, v80
	s_wait_dscnt 0x4
	v_add_f32_e32 v37, v37, v79
	ds_bpermute_b32 v79, v16, v49
	v_cmp_gt_i32_e64 s10, 32, v81
	ds_bpermute_b32 v80, v16, v48
	s_wait_dscnt 0x4
	v_add_f32_e32 v38, v38, v77
	ds_bpermute_b32 v77, v16, v46
	ds_bpermute_b32 v82, v16, v44
	v_cndmask_b32_e64 v78, v3, v81, s10
	ds_bpermute_b32 v81, v16, v47
	s_wait_dscnt 0x6
	v_add_f32_e32 v41, v41, v83
	ds_bpermute_b32 v83, v16, v50
	v_cndmask_b32_e64 v49, -v49, v49, s0
	v_lshlrev_b32_e32 v78, 2, v78
	s_wait_dscnt 0x6
	v_dual_add_f32 v40, v40, v86 :: v_dual_add_f32 v33, v33, v84
	v_cndmask_b32_e64 v47, -v47, v47, s0
	v_dual_add_f32 v39, v39, v85 :: v_dual_and_b32 v84, 8, v0
	v_cndmask_b32_e64 v46, -v46, v46, s0
	v_cndmask_b32_e64 v48, -v48, v48, s0
	;; [unrolled: 1-line block ×3, first 2 shown]
	s_wait_dscnt 0x5
	v_add_f32_e32 v49, v49, v79
	ds_bpermute_b32 v86, v78, v51
	ds_bpermute_b32 v87, v78, v52
	v_cndmask_b32_e64 v50, -v50, v50, s0
	ds_bpermute_b32 v85, v78, v45
	ds_bpermute_b32 v79, v78, v59
	s_wait_dscnt 0x5
	v_add_f32_e32 v47, v47, v81
	v_cmp_eq_u32_e64 s10, 0, v84
	ds_bpermute_b32 v84, v78, v57
	ds_bpermute_b32 v81, v78, v58
	s_wait_alu 0xf1ff
	v_cndmask_b32_e64 v45, -v45, v45, s10
	v_add_f32_e32 v48, v48, v80
	v_cndmask_b32_e64 v51, -v51, v51, s10
	v_add_f32_e32 v46, v46, v77
	v_cndmask_b32_e64 v52, -v52, v52, s10
	ds_bpermute_b32 v77, v78, v54
	ds_bpermute_b32 v80, v78, v55
	v_cndmask_b32_e64 v55, -v55, v55, s10
	v_add_f32_e32 v44, v44, v82
	ds_bpermute_b32 v82, v78, v53
	v_cndmask_b32_e64 v53, -v53, v53, s10
	s_wait_dscnt 0x9
	v_add_f32_e32 v50, v50, v83
	ds_bpermute_b32 v83, v78, v56
	s_wait_dscnt 0x9
	v_add_f32_e32 v51, v51, v86
	v_cndmask_b32_e64 v57, -v57, v57, s10
	s_wait_dscnt 0x8
	v_add_f32_e32 v52, v52, v87
	ds_bpermute_b32 v86, v78, v6
	ds_bpermute_b32 v87, v78, v61
	s_wait_dscnt 0x9
	v_add_f32_e32 v45, v45, v85
	v_cndmask_b32_e64 v54, -v54, v54, s10
	v_cndmask_b32_e64 v56, -v56, v56, s10
	ds_bpermute_b32 v85, v78, v60
	v_cndmask_b32_e64 v59, -v59, v59, s10
	v_cndmask_b32_e64 v58, -v58, v58, s10
	;; [unrolled: 1-line block ×3, first 2 shown]
	s_wait_dscnt 0x5
	v_dual_add_f32 v54, v54, v77 :: v_dual_add_f32 v55, v55, v80
	v_cndmask_b32_e64 v61, -v61, v61, s10
	ds_bpermute_b32 v77, v78, v4
	s_wait_dscnt 0x5
	v_add_f32_e32 v53, v53, v82
	ds_bpermute_b32 v80, v78, v7
	ds_bpermute_b32 v82, v78, v11
	s_wait_dscnt 0x6
	v_add_f32_e32 v56, v56, v83
	ds_bpermute_b32 v83, v78, v62
	v_dual_add_f32 v59, v59, v79 :: v_dual_add_f32 v58, v58, v81
	s_wait_dscnt 0x6
	v_add_f32_e32 v79, v6, v86
	s_wait_dscnt 0x5
	v_add_f32_e32 v61, v61, v87
	ds_bpermute_b32 v81, v78, v13
	ds_bpermute_b32 v86, v78, v18
	ds_bpermute_b32 v87, v78, v72
	v_cndmask_b32_e64 v60, -v60, v60, s10
	v_add_f32_e32 v57, v57, v84
	ds_bpermute_b32 v84, v78, v63
	v_cndmask_b32_e64 v4, -v4, v4, s10
	v_cndmask_b32_e64 v6, -v7, v7, s10
	;; [unrolled: 1-line block ×4, first 2 shown]
	s_wait_dscnt 0x8
	v_add_f32_e32 v60, v60, v85
	v_cndmask_b32_e64 v62, -v63, v63, s10
	ds_bpermute_b32 v63, v78, v9
	ds_bpermute_b32 v85, v78, v5
	s_wait_dscnt 0x8
	v_dual_add_f32 v77, v4, v77 :: v_dual_add_f32 v80, v6, v80
	s_wait_dscnt 0x6
	v_add_f32_e32 v83, v11, v83
	v_cndmask_b32_e64 v4, -v9, v9, s10
	v_add_f32_e32 v82, v7, v82
	v_cndmask_b32_e64 v6, -v13, v13, s10
	v_cndmask_b32_e64 v7, -v18, v18, s10
	;; [unrolled: 1-line block ×3, first 2 shown]
	ds_bpermute_b32 v11, v78, v8
	ds_bpermute_b32 v13, v78, v10
	;; [unrolled: 1-line block ×4, first 2 shown]
	s_wait_dscnt 0x8
	v_dual_add_f32 v81, v6, v81 :: v_dual_add_f32 v86, v7, v86
	v_cndmask_b32_e64 v6, -v73, v73, s10
	s_wait_dscnt 0x7
	v_add_f32_e32 v87, v9, v87
	v_cndmask_b32_e64 v7, -v14, v14, s10
	ds_bpermute_b32 v9, v78, v12
	ds_bpermute_b32 v14, v78, v17
	v_cndmask_b32_e64 v5, -v5, v5, s10
	s_wait_dscnt 0x8
	v_add_f32_e32 v62, v62, v84
	ds_bpermute_b32 v84, v78, v74
	s_wait_dscnt 0x8
	v_add_f32_e32 v63, v4, v63
	v_cndmask_b32_e64 v4, -v8, v8, s10
	s_wait_dscnt 0x7
	v_add_f32_e32 v85, v5, v85
	v_cndmask_b32_e64 v5, -v10, v10, s10
	ds_bpermute_b32 v10, v78, v75
	ds_bpermute_b32 v73, v78, v15
	v_cndmask_b32_e64 v8, -v74, v74, s10
	ds_bpermute_b32 v74, v78, v20
	s_wait_dscnt 0x8
	v_dual_add_f32 v88, v4, v11 :: v_dual_add_f32 v89, v5, v13
	s_wait_dscnt 0x7
	v_add_f32_e32 v90, v6, v18
	v_cndmask_b32_e64 v4, -v12, v12, s10
	s_wait_dscnt 0x6
	v_add_f32_e32 v72, v7, v72
	v_cndmask_b32_e64 v6, -v17, v17, s10
	v_cndmask_b32_e64 v7, -v15, v15, s10
	ds_bpermute_b32 v11, v78, v19
	ds_bpermute_b32 v13, v78, v23
	;; [unrolled: 1-line block ×3, first 2 shown]
	v_cndmask_b32_e64 v5, -v75, v75, s10
	ds_bpermute_b32 v12, v78, v76
	ds_bpermute_b32 v17, v78, v25
	s_wait_dscnt 0x9
	v_dual_add_f32 v75, v4, v9 :: v_dual_add_f32 v92, v6, v14
	ds_bpermute_b32 v9, v78, v24
	ds_bpermute_b32 v14, v78, v26
	s_wait_dscnt 0x9
	v_dual_add_f32 v84, v8, v84 :: v_dual_add_f32 v91, v5, v10
	v_cndmask_b32_e64 v8, -v20, v20, s10
	s_wait_dscnt 0x8
	v_add_f32_e32 v73, v7, v73
	v_cndmask_b32_e64 v4, -v19, v19, s10
	v_cndmask_b32_e64 v6, -v23, v23, s10
	v_cndmask_b32_e64 v7, -v21, v21, s10
	ds_bpermute_b32 v10, v78, v29
	v_cndmask_b32_e64 v5, -v76, v76, s10
	s_wait_dscnt 0x8
	v_add_f32_e32 v74, v8, v74
	v_cndmask_b32_e64 v8, -v25, v25, s10
	ds_bpermute_b32 v18, v78, v27
	ds_bpermute_b32 v19, v78, v32
	s_wait_dscnt 0x7
	v_dual_add_f32 v94, v6, v13 :: v_dual_add_f32 v15, v7, v15
	v_cndmask_b32_e64 v6, -v26, v26, s10
	v_cndmask_b32_e64 v7, -v27, v27, s10
	v_add_f32_e32 v76, v4, v11
	v_cndmask_b32_e64 v4, -v24, v24, s10
	ds_bpermute_b32 v11, v78, v22
	ds_bpermute_b32 v13, v78, v28
	s_wait_dscnt 0x8
	v_add_f32_e32 v93, v5, v12
	v_cndmask_b32_e64 v5, -v29, v29, s10
	s_wait_dscnt 0x7
	v_add_f32_e32 v95, v8, v17
	ds_bpermute_b32 v12, v78, v34
	ds_bpermute_b32 v17, v78, v30
	;; [unrolled: 1-line block ×3, first 2 shown]
	s_wait_dscnt 0x8
	v_dual_add_f32 v29, v4, v9 :: v_dual_add_f32 v96, v6, v14
	ds_bpermute_b32 v9, v78, v33
	ds_bpermute_b32 v14, v78, v38
	v_cndmask_b32_e64 v8, -v32, v32, s10
	s_wait_dscnt 0x9
	v_add_f32_e32 v32, v5, v10
	v_cndmask_b32_e64 v4, -v22, v22, s10
	v_cndmask_b32_e64 v6, -v28, v28, s10
	ds_bpermute_b32 v10, v78, v39
	s_wait_dscnt 0x9
	v_add_f32_e32 v97, v7, v18
	v_cndmask_b32_e64 v5, -v34, v34, s10
	s_wait_dscnt 0x8
	v_add_f32_e32 v98, v8, v19
	v_cndmask_b32_e64 v7, -v30, v30, s10
	ds_bpermute_b32 v8, v78, v31
	v_cndmask_b32_e64 v19, -v36, v36, s10
	s_wait_dscnt 0x8
	v_add_f32_e32 v30, v4, v11
	v_cndmask_b32_e64 v4, -v31, v31, s10
	s_wait_dscnt 0x7
	v_add_f32_e32 v100, v6, v13
	v_cndmask_b32_e64 v6, -v33, v33, s10
	v_cndmask_b32_e64 v13, -v38, v38, s10
	ds_bpermute_b32 v18, v78, v35
	s_wait_dscnt 0x7
	v_add_f32_e32 v99, v5, v12
	s_wait_dscnt 0x6
	v_add_f32_e32 v101, v7, v17
	s_wait_dscnt 0x4
	v_dual_add_f32 v102, v19, v20 :: v_dual_add_f32 v103, v6, v9
	ds_bpermute_b32 v5, v78, v43
	ds_bpermute_b32 v7, v78, v41
	v_cndmask_b32_e64 v6, -v41, v41, s10
	s_wait_dscnt 0x5
	v_add_f32_e32 v105, v13, v14
	v_xor_b32_e32 v13, 16, v3
	ds_bpermute_b32 v11, v78, v40
	v_cndmask_b32_e64 v12, -v39, v39, s10
	ds_bpermute_b32 v17, v78, v42
	ds_bpermute_b32 v9, v78, v37
	v_cmp_gt_i32_e64 s11, 32, v13
	v_cndmask_b32_e64 v19, -v35, v35, s10
	s_wait_dscnt 0x6
	v_add_f32_e32 v31, v4, v8
	v_cndmask_b32_e64 v4, -v43, v43, s10
	v_cndmask_b32_e64 v8, -v40, v40, s10
	s_wait_alu 0xf1ff
	v_cndmask_b32_e64 v3, v3, v13, s11
	v_add_f32_e32 v104, v12, v10
	ds_bpermute_b32 v10, v78, v46
	ds_bpermute_b32 v12, v78, v48
	s_wait_dscnt 0x7
	v_dual_add_f32 v106, v19, v18 :: v_dual_lshlrev_b32 v111, 2, v3
	s_wait_dscnt 0x6
	v_add_f32_e32 v107, v4, v5
	v_cndmask_b32_e64 v4, -v42, v42, s10
	s_wait_dscnt 0x5
	v_add_f32_e32 v108, v6, v7
	v_cndmask_b32_e64 v5, -v46, v46, s10
	v_cndmask_b32_e64 v6, -v48, v48, s10
	s_wait_dscnt 0x4
	v_add_f32_e32 v109, v8, v11
	ds_bpermute_b32 v3, v78, v44
	s_wait_dscnt 0x4
	v_add_f32_e32 v110, v4, v17
	v_cndmask_b32_e64 v4, -v37, v37, s10
	ds_bpermute_b32 v7, v78, v50
	ds_bpermute_b32 v8, v78, v49
	;; [unrolled: 1-line block ×7, first 2 shown]
	s_wait_dscnt 0x9
	v_add_f32_e32 v113, v5, v10
	v_cndmask_b32_e64 v5, -v44, v44, s10
	v_add_f32_e32 v112, v4, v9
	v_and_b32_e32 v4, 16, v0
	s_wait_dscnt 0x8
	v_add_f32_e32 v114, v6, v12
	v_cndmask_b32_e64 v6, -v50, v50, s10
	v_cndmask_b32_e64 v9, -v49, v49, s10
	;; [unrolled: 1-line block ×3, first 2 shown]
	v_cmp_eq_u32_e64 s10, 0, v4
	ds_bpermute_b32 v12, v111, v51
	ds_bpermute_b32 v19, v111, v53
	s_wait_dscnt 0x9
	v_add_f32_e32 v115, v5, v3
	ds_bpermute_b32 v20, v111, v60
	s_wait_alu 0xf1ff
	v_cndmask_b32_e64 v4, -v45, v45, s10
	s_wait_dscnt 0x8
	v_dual_add_f32 v116, v6, v7 :: v_dual_add_f32 v117, v9, v8
	s_wait_dscnt 0x7
	v_add_f32_e32 v118, v10, v11
	ds_bpermute_b32 v9, v111, v56
	s_wait_dscnt 0x7
	v_add_f32_e32 v3, v4, v13
	ds_bpermute_b32 v10, v111, v57
	ds_bpermute_b32 v11, v111, v59
	ds_bpermute_b32 v13, v111, v58
	ds_bpermute_b32 v21, v111, v79
	ds_bpermute_b32 v22, v111, v61
	ds_bpermute_b32 v23, v111, v77
	ds_bpermute_b32 v24, v111, v80
	ds_bpermute_b32 v25, v111, v82
	v_cndmask_b32_e64 v4, -v51, v51, s10
	v_cndmask_b32_e64 v5, -v52, v52, s10
	;; [unrolled: 1-line block ×5, first 2 shown]
	ds_bpermute_b32 v26, v111, v83
	ds_bpermute_b32 v27, v111, v62
	ds_bpermute_b32 v28, v111, v63
	ds_bpermute_b32 v33, v111, v81
	ds_bpermute_b32 v34, v111, v85
	s_wait_dscnt 0x10
	v_dual_add_f32 v4, v4, v12 :: v_dual_add_f32 v7, v7, v18
	v_dual_add_f32 v5, v5, v14 :: v_dual_add_f32 v6, v6, v17
	s_wait_dscnt 0xf
	v_add_f32_e32 v8, v8, v19
	v_cndmask_b32_e64 v12, -v56, v56, s10
	v_cndmask_b32_e64 v14, -v57, v57, s10
	;; [unrolled: 1-line block ×5, first 2 shown]
	ds_bpermute_b32 v35, v111, v86
	ds_bpermute_b32 v36, v111, v87
	;; [unrolled: 1-line block ×5, first 2 shown]
	s_wait_dscnt 0x11
	v_dual_add_f32 v9, v12, v9 :: v_dual_add_f32 v10, v14, v10
	s_wait_dscnt 0x10
	v_add_f32_e32 v11, v17, v11
	v_cndmask_b32_e64 v14, -v79, v79, s10
	v_cndmask_b32_e64 v17, -v61, v61, s10
	s_wait_dscnt 0xf
	v_dual_add_f32 v12, v18, v13 :: v_dual_add_f32 v13, v19, v20
	v_cndmask_b32_e64 v18, -v77, v77, s10
	v_cndmask_b32_e64 v19, -v80, v80, s10
	;; [unrolled: 1-line block ×3, first 2 shown]
	ds_bpermute_b32 v40, v111, v72
	ds_bpermute_b32 v41, v111, v84
	;; [unrolled: 1-line block ×5, first 2 shown]
	s_wait_dscnt 0x10
	v_dual_add_f32 v14, v14, v21 :: v_dual_add_f32 v19, v19, v24
	v_add_f32_e32 v17, v17, v22
	v_cndmask_b32_e64 v21, -v83, v83, s10
	v_add_f32_e32 v18, v18, v23
	v_cndmask_b32_e64 v22, -v62, v62, s10
	v_cndmask_b32_e64 v23, -v63, v63, s10
	s_wait_dscnt 0xf
	v_add_f32_e32 v20, v20, v25
	v_cndmask_b32_e64 v24, -v81, v81, s10
	v_cndmask_b32_e64 v25, -v85, v85, s10
	ds_bpermute_b32 v45, v111, v73
	ds_bpermute_b32 v47, v111, v76
	;; [unrolled: 1-line block ×7, first 2 shown]
	s_wait_dscnt 0x14
	v_dual_add_f32 v21, v21, v26 :: v_dual_add_f32 v22, v22, v27
	s_wait_dscnt 0x11
	v_add_f32_e32 v25, v25, v34
	v_add_f32_e32 v23, v23, v28
	v_cndmask_b32_e64 v26, -v86, v86, s10
	v_cndmask_b32_e64 v27, -v87, v87, s10
	v_add_f32_e32 v24, v24, v33
	v_cndmask_b32_e64 v28, -v88, v88, s10
	v_cndmask_b32_e64 v33, -v89, v89, s10
	;; [unrolled: 1-line block ×3, first 2 shown]
	ds_bpermute_b32 v55, v111, v97
	ds_bpermute_b32 v58, v111, v99
	s_wait_dscnt 0xf
	v_dual_add_f32 v26, v26, v35 :: v_dual_add_f32 v33, v33, v38
	v_add_f32_e32 v27, v27, v36
	v_cndmask_b32_e64 v35, -v72, v72, s10
	v_add_f32_e32 v28, v28, v37
	v_cndmask_b32_e64 v36, -v84, v84, s10
	v_cndmask_b32_e64 v37, -v75, v75, s10
	s_wait_dscnt 0xe
	v_add_f32_e32 v34, v34, v39
	v_cndmask_b32_e64 v38, -v91, v91, s10
	v_cndmask_b32_e64 v39, -v92, v92, s10
	ds_bpermute_b32 v46, v111, v74
	s_wait_dscnt 0xd
	v_dual_add_f32 v35, v35, v40 :: v_dual_add_f32 v36, v36, v41
	s_wait_dscnt 0xc
	v_add_f32_e32 v37, v37, v42
	s_wait_dscnt 0xa
	v_add_f32_e32 v39, v39, v44
	v_cndmask_b32_e64 v40, -v73, v73, s10
	v_cndmask_b32_e64 v41, -v74, v74, s10
	v_add_f32_e32 v38, v38, v43
	v_cndmask_b32_e64 v42, -v76, v76, s10
	v_cndmask_b32_e64 v43, -v93, v93, s10
	;; [unrolled: 1-line block ×3, first 2 shown]
	ds_bpermute_b32 v51, v111, v95
	v_cndmask_b32_e64 v15, -v15, v15, s10
	v_cndmask_b32_e64 v29, -v29, v29, s10
	v_cndmask_b32_e64 v32, -v32, v32, s10
	ds_bpermute_b32 v56, v111, v98
	ds_bpermute_b32 v57, v111, v30
	;; [unrolled: 1-line block ×3, first 2 shown]
	s_wait_dscnt 0xb
	v_dual_add_f32 v40, v40, v45 :: v_dual_add_f32 v43, v43, v48
	s_wait_dscnt 0x9
	v_dual_add_f32 v42, v42, v47 :: v_dual_add_f32 v45, v15, v50
	;; [unrolled: 2-line block ×3, first 2 shown]
	v_cndmask_b32_e64 v15, -v97, v97, s10
	v_cndmask_b32_e64 v29, -v98, v98, s10
	s_wait_dscnt 0x7
	v_add_f32_e32 v48, v32, v53
	v_cndmask_b32_e64 v32, -v99, v99, s10
	ds_bpermute_b32 v61, v111, v102
	ds_bpermute_b32 v63, v111, v103
	;; [unrolled: 1-line block ×3, first 2 shown]
	s_wait_dscnt 0x8
	v_dual_add_f32 v50, v15, v55 :: v_dual_add_f32 v53, v32, v58
	ds_bpermute_b32 v58, v111, v106
	s_wait_dscnt 0x8
	v_add_f32_e32 v41, v41, v46
	v_cndmask_b32_e64 v46, -v95, v95, s10
	v_cndmask_b32_e64 v30, -v30, v30, s10
	ds_bpermute_b32 v60, v111, v101
	v_cndmask_b32_e64 v49, -v96, v96, s10
	ds_bpermute_b32 v62, v111, v31
	s_wait_dscnt 0x9
	v_add_f32_e32 v46, v46, v51
	ds_bpermute_b32 v74, v111, v104
	s_wait_dscnt 0x9
	v_add_f32_e32 v51, v29, v56
	v_cndmask_b32_e64 v15, -v101, v101, s10
	s_wait_dscnt 0x8
	v_add_f32_e32 v52, v30, v57
	v_cndmask_b32_e64 v29, -v102, v102, s10
	v_cndmask_b32_e64 v30, -v31, v31, s10
	;; [unrolled: 1-line block ×3, first 2 shown]
	s_wait_dscnt 0x7
	v_add_f32_e32 v49, v49, v54
	v_cndmask_b32_e64 v54, -v100, v100, s10
	s_wait_dscnt 0x6
	v_add_f32_e32 v56, v29, v61
	ds_bpermute_b32 v57, v111, v105
	s_wait_dscnt 0x6
	v_add_f32_e32 v73, v31, v63
	v_cndmask_b32_e64 v31, -v106, v106, s10
	ds_bpermute_b32 v79, v111, v109
	ds_bpermute_b32 v29, v111, v112
	v_cndmask_b32_e64 v61, -v109, v109, s10
	v_cndmask_b32_e64 v32, -v104, v104, s10
	s_wait_dscnt 0x6
	v_add_f32_e32 v76, v31, v58
	v_cndmask_b32_e64 v31, -v112, v112, s10
	v_add_f32_e32 v54, v54, v59
	ds_bpermute_b32 v59, v111, v107
	ds_bpermute_b32 v78, v111, v108
	s_wait_dscnt 0x7
	v_add_f32_e32 v55, v15, v60
	ds_bpermute_b32 v15, v111, v110
	s_wait_dscnt 0x6
	v_add_f32_e32 v74, v32, v74
	v_cndmask_b32_e64 v32, -v107, v107, s10
	v_add_f32_e32 v72, v30, v62
	ds_bpermute_b32 v62, v111, v113
	ds_bpermute_b32 v63, v111, v114
	v_cndmask_b32_e64 v30, -v105, v105, s10
	ds_bpermute_b32 v84, v111, v115
	v_cndmask_b32_e64 v60, -v108, v108, s10
	ds_bpermute_b32 v58, v111, v118
	s_wait_dscnt 0x8
	v_add_f32_e32 v79, v61, v79
	v_add_f32_e32 v75, v30, v57
	v_cndmask_b32_e64 v30, -v110, v110, s10
	s_wait_dscnt 0x7
	v_add_f32_e32 v81, v31, v29
	v_cndmask_b32_e64 v29, -v114, v114, s10
	v_and_b32_e32 v31, 7, v0
	ds_bpermute_b32 v57, v111, v117
	s_wait_dscnt 0x7
	v_add_f32_e32 v77, v32, v59
	ds_bpermute_b32 v32, v111, v116
	s_wait_dscnt 0x7
	v_add_f32_e32 v78, v60, v78
	v_lshrrev_b32_e32 v59, 3, v0
	v_cndmask_b32_e64 v60, -v118, v118, s10
	s_wait_dscnt 0x6
	v_add_f32_e32 v80, v30, v15
	v_cndmask_b32_e64 v15, -v113, v113, s10
	v_cndmask_b32_e64 v30, -v115, v115, s10
	s_wait_dscnt 0x4
	v_add_f32_e32 v83, v29, v63
	v_lshl_or_b32 v29, v31, 5, v59
	v_cndmask_b32_e64 v59, -v117, v117, s10
	v_add_f32_e32 v82, v15, v62
	v_lshrrev_b32_e32 v15, 5, v0
	s_wait_dscnt 0x3
	v_add_f32_e32 v84, v30, v84
	v_cndmask_b32_e64 v30, -v116, v116, s10
	s_wait_dscnt 0x2
	v_add_f32_e32 v87, v60, v58
	v_xor_b32_e32 v0, v15, v0
	v_xor_b32_e32 v15, v29, v31
	s_wait_dscnt 0x0
	v_dual_add_f32 v86, v59, v57 :: v_dual_add_f32 v85, v30, v32
	s_delay_alu instid0(VALU_DEP_3) | instskip(NEXT) | instid1(VALU_DEP_3)
	v_lshl_add_u32 v60, v0, 4, 0
	v_lshl_add_u32 v32, v15, 4, 0
	ds_store_b128 v60, v[3:6]
	ds_store_b128 v60, v[7:10] offset:4096
	ds_store_b128 v60, v[11:14] offset:8192
	;; [unrolled: 1-line block ×7, first 2 shown]
	s_wait_loadcnt_dscnt 0x0
	s_barrier_signal -1
	s_barrier_wait -1
	global_inv scope:SCOPE_SE
	ds_load_b128 v[3:6], v32
	ds_load_b128 v[7:10], v32 offset:4096
	ds_load_b128 v[11:14], v32 offset:8192
	ds_load_b128 v[17:20], v32 offset:12288
	ds_load_b128 v[21:24], v32 offset:16384
	ds_load_b128 v[25:28], v32 offset:20480
	ds_load_b128 v[33:36], v32 offset:24576
	ds_load_b128 v[37:40], v32 offset:28672
	s_wait_loadcnt_dscnt 0x0
	s_barrier_signal -1
	s_barrier_wait -1
	global_inv scope:SCOPE_SE
	ds_bpermute_b32 v0, v1, v3
	ds_bpermute_b32 v15, v1, v4
	;; [unrolled: 1-line block ×4, first 2 shown]
	v_cndmask_b32_e64 v31, -v3, v3, s1
	v_cndmask_b32_e64 v57, -v4, v4, s1
	;; [unrolled: 1-line block ×4, first 2 shown]
	ds_bpermute_b32 v61, v1, v7
	ds_bpermute_b32 v62, v1, v8
	;; [unrolled: 1-line block ×3, first 2 shown]
	v_cndmask_b32_e64 v9, -v9, v9, s1
	v_cndmask_b32_e64 v7, -v7, v7, s1
	;; [unrolled: 1-line block ×3, first 2 shown]
	s_wait_dscnt 0x5
	v_dual_add_f32 v0, v31, v0 :: v_dual_add_f32 v15, v57, v15
	ds_store_b128 v60, v[41:44]
	ds_store_b128 v60, v[45:48] offset:4096
	ds_store_b128 v60, v[49:52] offset:8192
	;; [unrolled: 1-line block ×7, first 2 shown]
	ds_bpermute_b32 v84, v1, v10
	ds_bpermute_b32 v85, v1, v11
	s_wait_dscnt 0xd
	v_dual_add_f32 v29, v58, v29 :: v_dual_add_f32 v30, v59, v30
	ds_bpermute_b32 v31, v1, v12
	ds_bpermute_b32 v57, v1, v13
	;; [unrolled: 1-line block ×5, first 2 shown]
	v_cndmask_b32_e64 v10, -v10, v10, s1
	v_cndmask_b32_e64 v11, -v11, v11, s1
	s_wait_dscnt 0x10
	v_dual_add_f32 v7, v7, v61 :: v_dual_add_f32 v8, v8, v62
	s_wait_dscnt 0xf
	v_add_f32_e32 v9, v9, v63
	v_cndmask_b32_e64 v12, -v12, v12, s1
	v_cndmask_b32_e64 v13, -v13, v13, s1
	;; [unrolled: 1-line block ×5, first 2 shown]
	ds_bpermute_b32 v61, v1, v19
	ds_bpermute_b32 v62, v1, v20
	;; [unrolled: 1-line block ×3, first 2 shown]
	s_wait_dscnt 0x8
	v_dual_add_f32 v10, v10, v84 :: v_dual_add_f32 v11, v11, v85
	ds_bpermute_b32 v84, v1, v22
	ds_bpermute_b32 v85, v1, v23
	s_wait_dscnt 0x8
	v_dual_add_f32 v12, v12, v31 :: v_dual_add_f32 v13, v13, v57
	s_wait_dscnt 0x6
	v_dual_add_f32 v14, v14, v58 :: v_dual_add_f32 v17, v17, v59
	v_cndmask_b32_e64 v19, -v19, v19, s1
	s_wait_dscnt 0x5
	v_add_f32_e32 v18, v18, v86
	ds_bpermute_b32 v31, v1, v24
	ds_bpermute_b32 v57, v1, v25
	ds_bpermute_b32 v58, v1, v26
	ds_bpermute_b32 v59, v1, v27
	ds_bpermute_b32 v86, v1, v28
	s_wait_loadcnt_dscnt 0x0
	s_barrier_signal -1
	s_barrier_wait -1
	global_inv scope:SCOPE_SE
	ds_load_b128 v[41:44], v32
	ds_load_b128 v[45:48], v32 offset:4096
	ds_load_b128 v[49:52], v32 offset:8192
	;; [unrolled: 1-line block ×5, first 2 shown]
	v_cndmask_b32_e64 v20, -v20, v20, s1
	v_cndmask_b32_e64 v21, -v21, v21, s1
	;; [unrolled: 1-line block ×4, first 2 shown]
	s_delay_alu instid0(VALU_DEP_4) | instskip(NEXT) | instid1(VALU_DEP_4)
	v_dual_add_f32 v19, v19, v61 :: v_dual_add_f32 v20, v20, v62
	v_add_f32_e32 v21, v21, v63
	v_cndmask_b32_e64 v24, -v24, v24, s1
	v_cndmask_b32_e64 v25, -v25, v25, s1
	;; [unrolled: 1-line block ×5, first 2 shown]
	ds_bpermute_b32 v61, v1, v33
	ds_bpermute_b32 v62, v1, v34
	;; [unrolled: 1-line block ×3, first 2 shown]
	v_dual_add_f32 v22, v22, v84 :: v_dual_add_f32 v23, v23, v85
	ds_bpermute_b32 v84, v1, v36
	ds_bpermute_b32 v85, v1, v37
	v_dual_add_f32 v24, v24, v31 :: v_dual_add_f32 v25, v25, v57
	v_dual_add_f32 v26, v26, v58 :: v_dual_add_f32 v27, v27, v59
	v_cndmask_b32_e64 v31, -v33, v33, s1
	v_add_f32_e32 v28, v28, v86
	v_cndmask_b32_e64 v33, -v34, v34, s1
	v_cndmask_b32_e64 v34, -v35, v35, s1
	;; [unrolled: 1-line block ×4, first 2 shown]
	ds_bpermute_b32 v37, v1, v38
	ds_bpermute_b32 v57, v1, v39
	;; [unrolled: 1-line block ×3, first 2 shown]
	s_wait_dscnt 0xd
	ds_bpermute_b32 v59, v1, v41
	ds_bpermute_b32 v86, v1, v42
	s_wait_dscnt 0x9
	v_add_f32_e32 v31, v31, v61
	s_wait_dscnt 0x7
	v_dual_add_f32 v33, v33, v62 :: v_dual_add_f32 v34, v34, v63
	v_cndmask_b32_e64 v38, -v38, v38, s1
	v_cndmask_b32_e64 v39, -v39, v39, s1
	;; [unrolled: 1-line block ×5, first 2 shown]
	ds_bpermute_b32 v61, v1, v43
	ds_bpermute_b32 v62, v1, v44
	;; [unrolled: 1-line block ×3, first 2 shown]
	s_wait_dscnt 0x8
	v_dual_add_f32 v35, v35, v84 :: v_dual_add_f32 v36, v36, v85
	ds_bpermute_b32 v84, v1, v46
	ds_bpermute_b32 v85, v1, v47
	s_wait_dscnt 0x9
	v_add_f32_e32 v37, v38, v37
	s_wait_dscnt 0x7
	v_dual_add_f32 v38, v39, v57 :: v_dual_add_f32 v39, v40, v58
	s_wait_dscnt 0x5
	v_dual_add_f32 v40, v41, v59 :: v_dual_add_f32 v41, v42, v86
	v_cndmask_b32_e64 v42, -v43, v43, s1
	v_cndmask_b32_e64 v43, -v44, v44, s1
	;; [unrolled: 1-line block ×5, first 2 shown]
	ds_bpermute_b32 v47, v1, v48
	ds_bpermute_b32 v57, v1, v49
	;; [unrolled: 1-line block ×5, first 2 shown]
	s_wait_dscnt 0x8
	v_dual_add_f32 v42, v42, v61 :: v_dual_add_f32 v43, v43, v62
	s_wait_dscnt 0x7
	v_add_f32_e32 v44, v44, v63
	v_cndmask_b32_e64 v48, -v48, v48, s1
	v_cndmask_b32_e64 v49, -v49, v49, s1
	;; [unrolled: 1-line block ×5, first 2 shown]
	ds_bpermute_b32 v61, v1, v53
	ds_bpermute_b32 v62, v1, v54
	;; [unrolled: 1-line block ×3, first 2 shown]
	ds_load_b128 v[3:6], v32 offset:24576
	ds_load_b128 v[80:83], v32 offset:28672
	s_wait_dscnt 0xa
	v_dual_add_f32 v45, v45, v84 :: v_dual_add_f32 v46, v46, v85
	ds_bpermute_b32 v84, v1, v56
	ds_bpermute_b32 v85, v1, v72
	s_wait_dscnt 0xa
	v_dual_add_f32 v47, v48, v47 :: v_dual_add_f32 v48, v49, v57
	s_wait_dscnt 0x8
	v_dual_add_f32 v49, v50, v58 :: v_dual_add_f32 v50, v51, v59
	s_wait_dscnt 0x7
	v_add_f32_e32 v51, v52, v86
	v_cndmask_b32_e64 v52, -v53, v53, s1
	v_cndmask_b32_e64 v53, -v54, v54, s1
	;; [unrolled: 1-line block ×5, first 2 shown]
	ds_bpermute_b32 v57, v1, v73
	ds_bpermute_b32 v58, v1, v74
	;; [unrolled: 1-line block ×5, first 2 shown]
	s_wait_dscnt 0xa
	v_dual_add_f32 v52, v52, v61 :: v_dual_add_f32 v53, v53, v62
	s_wait_dscnt 0x9
	v_add_f32_e32 v54, v54, v63
	v_cndmask_b32_e64 v61, -v73, v73, s1
	v_cndmask_b32_e64 v62, -v74, v74, s1
	;; [unrolled: 1-line block ×5, first 2 shown]
	ds_bpermute_b32 v75, v1, v78
	ds_bpermute_b32 v76, v1, v79
	s_wait_dscnt 0xa
	ds_bpermute_b32 v77, v1, v3
	s_wait_dscnt 0x8
	v_dual_add_f32 v55, v55, v84 :: v_dual_add_f32 v56, v56, v85
	ds_bpermute_b32 v84, v1, v4
	ds_bpermute_b32 v85, v1, v5
	s_wait_dscnt 0x8
	v_dual_add_f32 v57, v61, v57 :: v_dual_add_f32 v58, v62, v58
	s_wait_dscnt 0x7
	v_add_f32_e32 v59, v63, v59
	s_wait_dscnt 0x5
	v_dual_add_f32 v61, v73, v72 :: v_dual_add_f32 v62, v74, v86
	v_cndmask_b32_e64 v63, -v78, v78, s1
	v_cndmask_b32_e64 v72, -v79, v79, s1
	ds_bpermute_b32 v73, v1, v6
	ds_bpermute_b32 v74, v1, v80
	;; [unrolled: 1-line block ×4, first 2 shown]
	v_cndmask_b32_e64 v3, -v3, v3, s1
	v_cndmask_b32_e64 v4, -v4, v4, s1
	;; [unrolled: 1-line block ×3, first 2 shown]
	s_wait_dscnt 0x7
	v_dual_add_f32 v63, v63, v75 :: v_dual_add_f32 v72, v72, v76
	s_wait_dscnt 0x6
	v_add_f32_e32 v3, v3, v77
	v_cndmask_b32_e64 v6, -v6, v6, s1
	v_cndmask_b32_e64 v75, -v80, v80, s1
	;; [unrolled: 1-line block ×4, first 2 shown]
	ds_bpermute_b32 v1, v1, v83
	s_wait_dscnt 0x5
	v_dual_add_f32 v4, v4, v84 :: v_dual_add_f32 v5, v5, v85
	v_cndmask_b32_e64 v80, -v83, v83, s1
	ds_bpermute_b32 v81, v2, v0
	ds_bpermute_b32 v82, v2, v15
	;; [unrolled: 1-line block ×5, first 2 shown]
	s_wait_dscnt 0x9
	v_add_f32_e32 v6, v6, v73
	v_cndmask_b32_e64 v0, -v0, v0, s9
	s_wait_dscnt 0x8
	v_add_f32_e32 v73, v75, v74
	s_wait_dscnt 0x7
	v_add_f32_e32 v74, v76, v78
	v_cndmask_b32_e64 v30, -v30, v30, s9
	s_wait_dscnt 0x6
	v_add_f32_e32 v75, v77, v79
	ds_bpermute_b32 v77, v2, v9
	ds_bpermute_b32 v78, v2, v10
	v_cndmask_b32_e64 v15, -v15, v15, s9
	v_cndmask_b32_e64 v29, -v29, v29, s9
	;; [unrolled: 1-line block ×5, first 2 shown]
	s_wait_dscnt 0x7
	v_add_f32_e32 v1, v80, v1
	ds_bpermute_b32 v76, v2, v8
	ds_bpermute_b32 v79, v2, v11
	;; [unrolled: 1-line block ×3, first 2 shown]
	s_wait_dscnt 0x9
	v_add_f32_e32 v0, v0, v81
	s_wait_dscnt 0x6
	v_add_f32_e32 v30, v30, v84
	v_cndmask_b32_e64 v8, -v8, v8, s9
	v_add_f32_e32 v15, v15, v82
	v_cndmask_b32_e64 v12, -v12, v12, s9
	v_add_f32_e32 v29, v29, v83
	ds_bpermute_b32 v81, v2, v13
	ds_bpermute_b32 v82, v2, v14
	;; [unrolled: 1-line block ×4, first 2 shown]
	s_wait_dscnt 0x7
	v_add_f32_e32 v10, v10, v78
	v_cndmask_b32_e64 v14, -v14, v14, s9
	v_add_f32_e32 v7, v7, v85
	ds_bpermute_b32 v85, v2, v19
	v_cndmask_b32_e64 v18, -v18, v18, s9
	v_add_f32_e32 v9, v9, v77
	ds_bpermute_b32 v77, v2, v21
	ds_bpermute_b32 v78, v2, v22
	v_cndmask_b32_e64 v11, -v11, v11, s9
	v_cndmask_b32_e64 v13, -v13, v13, s9
	;; [unrolled: 1-line block ×6, first 2 shown]
	s_wait_dscnt 0x9
	v_add_f32_e32 v8, v8, v76
	s_wait_dscnt 0x7
	v_add_f32_e32 v12, v12, v80
	ds_bpermute_b32 v76, v2, v20
	ds_bpermute_b32 v80, v2, v24
	s_wait_dscnt 0x7
	v_dual_add_f32 v13, v13, v81 :: v_dual_add_f32 v14, v14, v82
	s_wait_dscnt 0x5
	v_add_f32_e32 v18, v18, v84
	v_cndmask_b32_e64 v20, -v20, v20, s9
	v_add_f32_e32 v11, v11, v79
	ds_bpermute_b32 v79, v2, v23
	v_cndmask_b32_e64 v24, -v24, v24, s9
	v_add_f32_e32 v17, v17, v83
	ds_bpermute_b32 v81, v2, v25
	ds_bpermute_b32 v82, v2, v26
	;; [unrolled: 1-line block ×4, first 2 shown]
	s_wait_dscnt 0x7
	v_add_f32_e32 v22, v22, v78
	v_cndmask_b32_e64 v26, -v26, v26, s9
	v_add_f32_e32 v19, v19, v85
	ds_bpermute_b32 v85, v2, v31
	v_cndmask_b32_e64 v28, -v28, v28, s9
	v_add_f32_e32 v21, v21, v77
	ds_bpermute_b32 v77, v2, v34
	ds_bpermute_b32 v78, v2, v35
	v_cndmask_b32_e64 v23, -v23, v23, s9
	v_cndmask_b32_e64 v25, -v25, v25, s9
	;; [unrolled: 1-line block ×6, first 2 shown]
	s_wait_dscnt 0x7
	v_dual_add_f32 v20, v20, v76 :: v_dual_add_f32 v23, v23, v79
	v_add_f32_e32 v24, v24, v80
	ds_bpermute_b32 v76, v2, v33
	ds_bpermute_b32 v79, v2, v36
	;; [unrolled: 1-line block ×3, first 2 shown]
	s_wait_dscnt 0x8
	v_add_f32_e32 v26, v26, v82
	s_wait_dscnt 0x6
	v_add_f32_e32 v28, v28, v84
	v_cndmask_b32_e64 v36, -v36, v36, s9
	v_add_f32_e32 v25, v25, v81
	ds_bpermute_b32 v81, v2, v38
	ds_bpermute_b32 v82, v2, v39
	;; [unrolled: 1-line block ×3, first 2 shown]
	s_wait_dscnt 0x7
	v_add_f32_e32 v34, v34, v77
	v_cndmask_b32_e64 v38, -v38, v38, s9
	v_add_f32_e32 v27, v27, v83
	ds_bpermute_b32 v83, v2, v40
	v_cndmask_b32_e64 v40, -v40, v40, s9
	v_add_f32_e32 v31, v31, v85
	ds_bpermute_b32 v85, v2, v42
	ds_bpermute_b32 v77, v2, v44
	v_cndmask_b32_e64 v44, -v44, v44, s9
	s_wait_dscnt 0x9
	v_add_f32_e32 v35, v35, v78
	ds_bpermute_b32 v78, v2, v45
	v_cndmask_b32_e64 v33, -v33, v33, s9
	v_cndmask_b32_e64 v37, -v37, v37, s9
	;; [unrolled: 1-line block ×6, first 2 shown]
	s_wait_dscnt 0x8
	v_dual_add_f32 v33, v33, v76 :: v_dual_add_f32 v36, v36, v79
	ds_bpermute_b32 v76, v2, v43
	ds_bpermute_b32 v79, v2, v46
	s_wait_dscnt 0x8
	v_add_f32_e32 v38, v38, v81
	v_cndmask_b32_e64 v46, -v46, v46, s9
	v_add_f32_e32 v37, v37, v80
	ds_bpermute_b32 v80, v2, v47
	s_wait_dscnt 0x6
	v_add_f32_e32 v40, v40, v83
	s_wait_dscnt 0x5
	v_add_f32_e32 v42, v42, v85
	ds_bpermute_b32 v81, v2, v48
	ds_bpermute_b32 v83, v2, v50
	;; [unrolled: 1-line block ×3, first 2 shown]
	s_wait_dscnt 0x7
	v_add_f32_e32 v44, v44, v77
	v_cndmask_b32_e64 v48, -v48, v48, s9
	v_add_f32_e32 v39, v39, v82
	ds_bpermute_b32 v82, v2, v49
	v_cndmask_b32_e64 v50, -v50, v50, s9
	v_add_f32_e32 v41, v41, v84
	ds_bpermute_b32 v84, v2, v51
	ds_bpermute_b32 v77, v2, v54
	v_cndmask_b32_e64 v54, -v54, v54, s9
	s_wait_dscnt 0x9
	v_add_f32_e32 v45, v45, v78
	ds_bpermute_b32 v78, v2, v55
	v_cndmask_b32_e64 v43, -v43, v43, s9
	v_cndmask_b32_e64 v47, -v47, v47, s9
	;; [unrolled: 1-line block ×6, first 2 shown]
	s_wait_dscnt 0x8
	v_dual_add_f32 v43, v43, v76 :: v_dual_add_f32 v46, v46, v79
	ds_bpermute_b32 v76, v2, v53
	ds_bpermute_b32 v79, v2, v56
	s_wait_dscnt 0x8
	v_add_f32_e32 v48, v48, v81
	s_wait_dscnt 0x7
	v_add_f32_e32 v50, v50, v83
	;; [unrolled: 2-line block ×3, first 2 shown]
	v_cndmask_b32_e64 v56, -v56, v56, s9
	v_add_f32_e32 v47, v47, v80
	ds_bpermute_b32 v80, v2, v57
	ds_bpermute_b32 v81, v2, v58
	;; [unrolled: 1-line block ×4, first 2 shown]
	s_wait_dscnt 0x6
	v_dual_add_f32 v54, v54, v77 :: v_dual_add_f32 v55, v55, v78
	v_cndmask_b32_e64 v58, -v58, v58, s9
	v_add_f32_e32 v49, v49, v82
	ds_bpermute_b32 v82, v2, v59
	ds_bpermute_b32 v77, v2, v3
	ds_bpermute_b32 v78, v2, v4
	v_cndmask_b32_e64 v4, -v4, v4, s9
	v_add_f32_e32 v51, v51, v84
	ds_bpermute_b32 v84, v2, v62
	v_cndmask_b32_e64 v53, -v53, v53, s9
	v_cndmask_b32_e64 v57, -v57, v57, s9
	v_cndmask_b32_e64 v59, -v59, v59, s9
	v_cndmask_b32_e64 v61, -v61, v61, s9
	v_cndmask_b32_e64 v62, -v62, v62, s9
	v_cndmask_b32_e64 v63, -v63, v63, s9
	v_cndmask_b32_e64 v3, -v3, v3, s9
	s_wait_dscnt 0x8
	v_add_f32_e32 v56, v56, v79
	ds_bpermute_b32 v79, v2, v5
	s_wait_dscnt 0x7
	v_add_f32_e32 v58, v58, v81
	s_wait_dscnt 0x5
	v_add_f32_e32 v63, v63, v85
	ds_bpermute_b32 v81, v2, v73
	v_cndmask_b32_e64 v5, -v5, v5, s9
	s_wait_loadcnt_dscnt 0x0
	v_add_f32_e32 v59, v59, v82
	ds_bpermute_b32 v82, v2, v74
	v_add_f32_e32 v78, v4, v78
	v_cndmask_b32_e64 v4, -v74, v74, s9
	v_add_f32_e32 v53, v53, v76
	ds_bpermute_b32 v76, v2, v72
	v_add_f32_e32 v62, v62, v84
	ds_bpermute_b32 v84, v16, v0
	v_cndmask_b32_e64 v0, -v0, v0, s0
	v_add_f32_e32 v85, v3, v77
	v_cndmask_b32_e64 v3, -v73, v73, s9
	ds_bpermute_b32 v73, v16, v29
	v_add_f32_e32 v57, v57, v80
	ds_bpermute_b32 v80, v2, v6
	v_cndmask_b32_e64 v6, -v6, v6, s9
	v_add_f32_e32 v61, v61, v83
	ds_bpermute_b32 v83, v2, v75
	ds_bpermute_b32 v2, v2, v1
	v_cndmask_b32_e64 v1, -v1, v1, s9
	v_cndmask_b32_e64 v72, -v72, v72, s9
	ds_bpermute_b32 v74, v16, v30
	s_wait_dscnt 0x7
	v_add_f32_e32 v82, v4, v82
	v_cndmask_b32_e64 v4, -v7, v7, s0
	v_add_f32_e32 v81, v3, v81
	v_cndmask_b32_e64 v3, -v30, v30, s0
	ds_bpermute_b32 v30, v16, v13
	v_add_f32_e32 v79, v5, v79
	v_cndmask_b32_e64 v5, -v75, v75, s9
	s_wait_dscnt 0x7
	v_add_f32_e32 v72, v72, v76
	ds_bpermute_b32 v75, v16, v7
	ds_bpermute_b32 v76, v16, v8
	;; [unrolled: 1-line block ×4, first 2 shown]
	s_wait_dscnt 0x8
	v_add_f32_e32 v80, v6, v80
	ds_bpermute_b32 v6, v16, v15
	v_add_f32_e32 v0, v0, v84
	s_barrier_signal -1
	s_wait_dscnt 0x7
	v_add_f32_e32 v86, v1, v2
	v_cndmask_b32_e64 v2, -v29, v29, s0
	v_cndmask_b32_e64 v1, -v15, v15, s0
	ds_bpermute_b32 v15, v16, v11
	ds_bpermute_b32 v29, v16, v12
	s_barrier_wait -1
	v_add_f32_e32 v2, v2, v73
	ds_bpermute_b32 v73, v16, v17
	v_add_f32_e32 v83, v5, v83
	v_cndmask_b32_e64 v5, -v8, v8, s0
	ds_bpermute_b32 v8, v16, v10
	s_wait_dscnt 0x0
	global_inv scope:SCOPE_SE
	v_add_f32_e32 v4, v4, v75
	ds_bpermute_b32 v75, v16, v19
	v_add_f32_e32 v1, v1, v6
	v_cndmask_b32_e64 v6, -v9, v9, s0
	v_cndmask_b32_e64 v9, -v10, v10, s0
	;; [unrolled: 1-line block ×3, first 2 shown]
	v_add_f32_e32 v3, v3, v74
	v_cndmask_b32_e64 v11, -v12, v12, s0
	v_cndmask_b32_e64 v12, -v13, v13, s0
	ds_bpermute_b32 v13, v16, v14
	ds_bpermute_b32 v74, v16, v18
	v_dual_add_f32 v6, v6, v7 :: v_dual_add_f32 v7, v9, v8
	v_add_f32_e32 v8, v10, v15
	v_cndmask_b32_e64 v15, -v19, v19, s0
	v_add_f32_e32 v5, v5, v76
	ds_bpermute_b32 v76, v16, v20
	v_add_f32_e32 v10, v12, v30
	v_cndmask_b32_e64 v12, -v17, v17, s0
	v_cndmask_b32_e64 v17, -v20, v20, s0
	ds_bpermute_b32 v19, v16, v22
	v_add_f32_e32 v9, v11, v29
	v_cndmask_b32_e64 v11, -v14, v14, s0
	v_cndmask_b32_e64 v14, -v18, v18, s0
	ds_bpermute_b32 v18, v16, v21
	ds_bpermute_b32 v20, v16, v23
	;; [unrolled: 1-line block ×4, first 2 shown]
	s_wait_dscnt 0x7
	v_add_f32_e32 v11, v11, v13
	s_wait_dscnt 0x6
	v_dual_add_f32 v13, v14, v74 :: v_dual_add_f32 v14, v15, v75
	ds_bpermute_b32 v75, v16, v31
	v_add_f32_e32 v12, v12, v73
	ds_bpermute_b32 v73, v16, v27
	ds_bpermute_b32 v74, v16, v28
	s_wait_dscnt 0x8
	v_add_f32_e32 v15, v17, v76
	v_cndmask_b32_e64 v17, -v21, v21, s0
	v_cndmask_b32_e64 v21, -v22, v22, s0
	;; [unrolled: 1-line block ×5, first 2 shown]
	ds_bpermute_b32 v25, v16, v26
	ds_bpermute_b32 v76, v16, v33
	s_wait_dscnt 0x8
	v_add_f32_e32 v17, v17, v18
	s_wait_dscnt 0x7
	v_dual_add_f32 v18, v21, v19 :: v_dual_add_f32 v19, v22, v20
	s_wait_dscnt 0x6
	v_add_f32_e32 v20, v23, v29
	v_cndmask_b32_e64 v22, -v26, v26, s0
	v_cndmask_b32_e64 v23, -v27, v27, s0
	v_cndmask_b32_e64 v26, -v31, v31, s0
	v_cndmask_b32_e64 v27, -v33, v33, s0
	ds_bpermute_b32 v29, v16, v35
	ds_bpermute_b32 v31, v16, v37
	v_cndmask_b32_e64 v33, -v35, v35, s0
	v_cndmask_b32_e64 v35, -v37, v37, s0
	ds_bpermute_b32 v37, v16, v39
	s_wait_dscnt 0x8
	v_add_f32_e32 v21, v24, v30
	v_cndmask_b32_e64 v24, -v28, v28, s0
	ds_bpermute_b32 v28, v16, v34
	ds_bpermute_b32 v30, v16, v36
	s_wait_dscnt 0x6
	v_add_f32_e32 v22, v22, v25
	s_wait_dscnt 0x5
	v_dual_add_f32 v25, v26, v75 :: v_dual_add_f32 v26, v27, v76
	v_cndmask_b32_e64 v27, -v34, v34, s0
	v_cndmask_b32_e64 v34, -v36, v36, s0
	;; [unrolled: 1-line block ×3, first 2 shown]
	ds_bpermute_b32 v38, v16, v40
	v_add_f32_e32 v24, v24, v74
	ds_bpermute_b32 v74, v16, v42
	ds_bpermute_b32 v75, v16, v43
	;; [unrolled: 1-line block ×3, first 2 shown]
	s_wait_dscnt 0x5
	v_dual_add_f32 v27, v27, v28 :: v_dual_add_f32 v28, v33, v29
	s_wait_dscnt 0x4
	v_add_f32_e32 v33, v34, v30
	v_cndmask_b32_e64 v29, -v39, v39, s0
	v_cndmask_b32_e64 v30, -v40, v40, s0
	;; [unrolled: 1-line block ×4, first 2 shown]
	v_add_f32_e32 v23, v23, v73
	ds_bpermute_b32 v73, v16, v41
	ds_bpermute_b32 v42, v16, v45
	v_dual_add_f32 v34, v35, v31 :: v_dual_add_f32 v35, v36, v77
	v_cndmask_b32_e64 v31, -v41, v41, s0
	ds_bpermute_b32 v41, v16, v44
	s_wait_dscnt 0x6
	v_dual_add_f32 v36, v29, v37 :: v_dual_add_f32 v37, v30, v38
	v_cndmask_b32_e64 v30, -v45, v45, s0
	ds_bpermute_b32 v43, v16, v46
	s_wait_dscnt 0x5
	v_add_f32_e32 v40, v40, v75
	v_cndmask_b32_e64 v29, -v44, v44, s0
	v_cndmask_b32_e64 v44, -v47, v47, s0
	ds_bpermute_b32 v47, v16, v50
	ds_bpermute_b32 v75, v16, v57
	v_cndmask_b32_e64 v57, -v57, v57, s0
	v_add_f32_e32 v39, v39, v74
	ds_bpermute_b32 v74, v16, v53
	ds_bpermute_b32 v77, v16, v48
	v_cndmask_b32_e64 v45, -v48, v48, s0
	s_wait_dscnt 0x7
	v_add_f32_e32 v38, v31, v73
	v_cndmask_b32_e64 v31, -v46, v46, s0
	ds_bpermute_b32 v46, v16, v49
	s_wait_dscnt 0x7
	v_add_f32_e32 v42, v30, v42
	v_cndmask_b32_e64 v30, -v50, v50, s0
	v_cndmask_b32_e64 v50, -v53, v53, s0
	ds_bpermute_b32 v53, v16, v56
	ds_bpermute_b32 v48, v16, v51
	s_wait_dscnt 0x8
	v_add_f32_e32 v41, v29, v41
	v_cndmask_b32_e64 v29, -v49, v49, s0
	v_cndmask_b32_e64 v56, -v56, v56, s0
	ds_bpermute_b32 v73, v16, v52
	v_add_f32_e32 v44, v44, v76
	v_cndmask_b32_e64 v49, -v52, v52, s0
	ds_bpermute_b32 v52, v16, v55
	ds_bpermute_b32 v76, v16, v58
	v_cndmask_b32_e64 v55, -v55, v55, s0
	v_cndmask_b32_e64 v58, -v58, v58, s0
	s_wait_dscnt 0x6
	v_add_f32_e32 v45, v45, v77
	ds_bpermute_b32 v77, v16, v72
	v_add_f32_e32 v50, v50, v74
	s_wait_dscnt 0x6
	v_add_f32_e32 v46, v29, v46
	ds_bpermute_b32 v29, v16, v59
	ds_store_b128 v32, v[0:3]
	ds_store_b128 v32, v[4:7] offset:4096
	ds_store_b128 v32, v[8:11] offset:8192
	ds_store_b128 v32, v[12:15] offset:12288
	ds_store_b128 v32, v[17:20] offset:16384
	ds_store_b128 v32, v[21:24] offset:20480
	ds_store_b128 v32, v[25:28] offset:24576
	ds_store_b128 v32, v[33:36] offset:28672
	v_cndmask_b32_e64 v17, -v78, v78, s0
	s_wait_dscnt 0xe
	v_add_f32_e32 v53, v56, v53
	v_cndmask_b32_e64 v56, -v59, v59, s0
	v_add_f32_e32 v43, v31, v43
	v_cndmask_b32_e64 v31, -v51, v51, s0
	ds_bpermute_b32 v51, v16, v54
	v_cndmask_b32_e64 v54, -v54, v54, s0
	v_cndmask_b32_e64 v59, -v63, v63, s0
	s_wait_loadcnt_dscnt 0x0
	v_add_f32_e32 v48, v31, v48
	ds_bpermute_b32 v31, v16, v62
	v_add_f32_e32 v52, v55, v52
	s_barrier_signal -1
	s_barrier_wait -1
	s_wait_dscnt 0x0
	global_inv scope:SCOPE_SE
	ds_load_b128 v[0:3], v60
	ds_load_b128 v[4:7], v60 offset:8192
	ds_load_b128 v[8:11], v60 offset:16384
	;; [unrolled: 1-line block ×3, first 2 shown]
	v_cndmask_b32_e64 v18, -v81, v81, s0
	v_add_f32_e32 v56, v56, v29
	ds_bpermute_b32 v29, v16, v85
	v_cndmask_b32_e64 v19, -v82, v82, s0
	v_add_f32_e32 v51, v54, v51
	v_add_f32_e32 v54, v57, v75
	v_cndmask_b32_e64 v57, -v61, v61, s0
	v_add_f32_e32 v47, v30, v47
	ds_bpermute_b32 v30, v16, v61
	v_cndmask_b32_e64 v61, -v72, v72, s0
	v_cndmask_b32_e64 v72, -v83, v83, s0
	v_add_f32_e32 v55, v58, v76
	v_cndmask_b32_e64 v58, -v62, v62, s0
	ds_bpermute_b32 v62, v16, v83
	s_wait_dscnt 0x5
	v_add_f32_e32 v88, v0, v4
	s_wait_dscnt 0x3
	v_add_f32_e32 v90, v8, v12
	v_add_f32_e32 v92, v2, v6
	;; [unrolled: 1-line block ×3, first 2 shown]
	ds_bpermute_b32 v58, v16, v80
	v_add_f32_e32 v49, v49, v73
	ds_bpermute_b32 v73, v16, v63
	ds_bpermute_b32 v31, v16, v78
	;; [unrolled: 1-line block ×3, first 2 shown]
	v_dual_add_f32 v89, v1, v5 :: v_dual_add_f32 v94, v10, v14
	v_add_f32_e32 v91, v9, v13
	s_wait_dscnt 0x5
	v_add_f32_e32 v74, v57, v30
	ds_bpermute_b32 v57, v16, v79
	v_cndmask_b32_e64 v30, -v85, v85, s0
	s_delay_alu instid0(VALU_DEP_1)
	v_add_f32_e32 v33, v30, v29
	s_wait_dscnt 0x3
	v_add_f32_e32 v76, v59, v73
	ds_bpermute_b32 v59, v16, v81
	v_add_f32_e32 v77, v61, v77
	ds_bpermute_b32 v61, v16, v82
	s_wait_dscnt 0x4
	v_add_f32_e32 v34, v17, v31
	v_cndmask_b32_e64 v17, -v79, v79, s0
	v_cndmask_b32_e64 v16, -v80, v80, s0
	v_add_f32_e32 v80, v72, v62
	s_wait_dscnt 0x2
	s_delay_alu instid0(VALU_DEP_3) | instskip(NEXT) | instid1(VALU_DEP_3)
	v_dual_add_f32 v72, v88, v90 :: v_dual_add_f32 v35, v17, v57
	v_add_f32_e32 v36, v16, v58
	v_cndmask_b32_e64 v57, -v86, v86, s0
	s_mul_u64 s[0:1], s[18:19], s[20:21]
	s_wait_alu 0xfffe
	s_lshl_b64 s[0:1], s[0:1], 1
	s_wait_alu 0xfffe
	s_add_nc_u64 s[12:13], s[14:15], s[0:1]
	s_wait_dscnt 0x0
	v_dual_add_f32 v78, v18, v59 :: v_dual_add_f32 v79, v19, v61
	ds_load_b128 v[16:19], v60 offset:4096
	ds_load_b128 v[20:23], v60 offset:12288
	;; [unrolled: 1-line block ×4, first 2 shown]
	v_add_f32_e32 v81, v57, v63
	s_wait_loadcnt_dscnt 0x0
	s_barrier_signal -1
	s_barrier_wait -1
	global_inv scope:SCOPE_SE
	v_add_f32_e32 v93, v3, v7
	v_dual_add_f32 v95, v11, v15 :: v_dual_add_f32 v96, v16, v20
	ds_store_b128 v32, v[37:40]
	ds_store_b128 v32, v[41:44] offset:4096
	ds_store_b128 v32, v[45:48] offset:8192
	;; [unrolled: 1-line block ×7, first 2 shown]
	s_wait_loadcnt_dscnt 0x0
	s_barrier_signal -1
	s_barrier_wait -1
	global_inv scope:SCOPE_SE
	ds_load_b128 v[32:35], v60
	ds_load_b128 v[40:43], v60 offset:8192
	ds_load_b128 v[36:39], v60 offset:4096
	;; [unrolled: 1-line block ×7, first 2 shown]
	v_add_f32_e32 v103, v27, v31
	v_dual_add_f32 v101, v19, v23 :: v_dual_add_f32 v74, v92, v94
	v_dual_add_f32 v73, v89, v91 :: v_dual_add_f32 v98, v24, v28
	v_add_f32_e32 v97, v17, v21
	v_dual_add_f32 v99, v25, v29 :: v_dual_add_f32 v100, v18, v22
	v_add_f32_e32 v102, v26, v30
	s_delay_alu instid0(VALU_DEP_4) | instskip(NEXT) | instid1(VALU_DEP_2)
	v_dual_add_f32 v78, v93, v95 :: v_dual_add_f32 v79, v96, v98
	v_add_f32_e32 v77, v100, v102
	s_wait_dscnt 0x6
	v_add_f32_e32 v105, v33, v41
	s_wait_dscnt 0x4
	v_dual_add_f32 v109, v37, v45 :: v_dual_add_f32 v110, v38, v46
	s_wait_dscnt 0x0
	v_dual_add_f32 v118, v54, v62 :: v_dual_add_f32 v107, v35, v43
	v_dual_add_f32 v116, v52, v60 :: v_dual_add_f32 v115, v51, v59
	v_add_f32_e32 v104, v32, v40
	s_delay_alu instid0(VALU_DEP_3)
	v_dual_add_f32 v82, v110, v118 :: v_dual_add_f32 v113, v49, v57
	v_add_f32_e32 v106, v34, v42
	v_dual_add_f32 v108, v36, v44 :: v_dual_add_f32 v75, v101, v103
	v_add_f32_e32 v112, v48, v56
	;; [unrolled: 2-line block ×5, first 2 shown]
	s_delay_alu instid0(VALU_DEP_4) | instskip(NEXT) | instid1(VALU_DEP_4)
	v_dual_add_f32 v87, v108, v116 :: v_dual_add_f32 v80, v111, v119
	v_add_f32_e32 v81, v109, v117
	s_and_saveexec_b32 s11, s8
	s_cbranch_execz .LBB37_18
; %bb.17:
	s_delay_alu instid0(VALU_DEP_2) | instskip(NEXT) | instid1(VALU_DEP_2)
	v_dual_add_f32 v120, v80, v75 :: v_dual_add_f32 v121, v82, v77
	v_dual_add_f32 v122, v81, v76 :: v_dual_add_f32 v123, v87, v79
	v_add_f32_e32 v124, v86, v78
	s_wait_kmcnt 0x0
	s_delay_alu instid0(VALU_DEP_3) | instskip(NEXT) | instid1(VALU_DEP_3)
	v_dual_mul_f32 v120, s16, v120 :: v_dual_add_f32 v125, v85, v74
	v_dual_mul_f32 v121, s16, v121 :: v_dual_mul_f32 v122, s16, v122
	v_mul_f32_e32 v123, s16, v123
	s_delay_alu instid0(VALU_DEP_3) | instskip(SKIP_1) | instid1(VALU_DEP_4)
	v_bfe_u32 v128, v120, 16, 1
	v_or_b32_e32 v130, 0x400000, v120
	v_bfe_u32 v129, v121, 16, 1
	v_cmp_u_f32_e64 s0, v120, v120
	v_dual_add_f32 v126, v84, v73 :: v_dual_add_f32 v127, v83, v72
	v_add3_u32 v120, v128, v120, 0x7fff
	v_or_b32_e32 v128, 0x400000, v121
	v_bfe_u32 v131, v122, 16, 1
	v_add3_u32 v129, v129, v121, 0x7fff
	v_dual_mul_f32 v124, s16, v124 :: v_dual_mul_f32 v125, s16, v125
	s_wait_alu 0xf1ff
	v_cndmask_b32_e64 v120, v120, v130, s0
	v_bfe_u32 v130, v123, 16, 1
	v_cmp_u_f32_e64 s0, v121, v121
	v_add3_u32 v121, v131, v122, 0x7fff
	v_or_b32_e32 v131, 0x400000, v122
	v_cmp_u_f32_e64 s1, v122, v122
	v_mul_f32_e32 v127, s16, v127
	s_wait_alu 0xf1ff
	v_cndmask_b32_e64 v122, v129, v128, s0
	v_add3_u32 v128, v130, v123, 0x7fff
	v_or_b32_e32 v129, 0x400000, v123
	v_bfe_u32 v130, v124, 16, 1
	v_cmp_u_f32_e64 s0, v123, v123
	v_mul_f32_e32 v123, s16, v126
	v_cndmask_b32_e64 v121, v121, v131, s1
	v_or_b32_e32 v131, 0x400000, v124
	v_add3_u32 v126, v130, v124, 0x7fff
	v_bfe_u32 v130, v125, 16, 1
	v_bfe_u32 v132, v123, 16, 1
	v_cmp_u_f32_e64 s1, v124, v124
	v_bfe_u32 v124, v127, 16, 1
	v_or_b32_e32 v133, 0x400000, v125
	v_add3_u32 v130, v130, v125, 0x7fff
	v_add3_u32 v132, v132, v123, 0x7fff
	v_or_b32_e32 v134, 0x400000, v123
	v_add3_u32 v124, v124, v127, 0x7fff
	v_or_b32_e32 v135, 0x400000, v127
	v_cmp_u_f32_e64 s8, v125, v125
	v_cmp_u_f32_e64 s9, v123, v123
	;; [unrolled: 1-line block ×3, first 2 shown]
	s_wait_alu 0xf1ff
	v_cndmask_b32_e64 v125, v128, v129, s0
	v_cndmask_b32_e64 v126, v126, v131, s1
	;; [unrolled: 1-line block ×5, first 2 shown]
	v_perm_b32 v123, v120, v122, 0x7060302
	v_perm_b32 v122, v121, v125, 0x7060302
	;; [unrolled: 1-line block ×3, first 2 shown]
	s_delay_alu instid0(VALU_DEP_4)
	v_perm_b32 v120, v128, v124, 0x7060302
	global_store_b128 v71, v[120:123], s[12:13]
.LBB37_18:
	s_wait_alu 0xfffe
	s_or_b32 exec_lo, exec_lo, s11
	v_dual_sub_f32 v71, v1, v5 :: v_dual_sub_f32 v120, v0, v4
	v_dual_sub_f32 v121, v8, v12 :: v_dual_sub_f32 v122, v9, v13
	v_sub_f32_e32 v123, v2, v6
	v_dual_sub_f32 v124, v10, v14 :: v_dual_sub_f32 v125, v3, v7
	v_dual_sub_f32 v130, v24, v28 :: v_dual_sub_f32 v131, v19, v23
	;; [unrolled: 1-line block ×3, first 2 shown]
	v_dual_add_f32 v0, v120, v121 :: v_dual_add_f32 v1, v71, v122
	v_sub_f32_e32 v128, v16, v20
	v_dual_sub_f32 v126, v11, v15 :: v_dual_sub_f32 v127, v17, v21
	v_dual_add_f32 v2, v123, v124 :: v_dual_sub_f32 v129, v25, v29
	v_dual_sub_f32 v132, v18, v22 :: v_dual_sub_f32 v41, v33, v41
	v_dual_add_f32 v3, v131, v134 :: v_dual_sub_f32 v40, v32, v40
	v_dual_sub_f32 v135, v35, v43 :: v_dual_sub_f32 v42, v34, v42
	v_dual_sub_f32 v136, v37, v45 :: v_dual_sub_f32 v137, v36, v44
	;; [unrolled: 1-line block ×7, first 2 shown]
	v_dual_add_f32 v6, v125, v126 :: v_dual_add_f32 v5, v132, v133
	v_dual_add_f32 v7, v128, v130 :: v_dual_add_f32 v4, v127, v129
	;; [unrolled: 1-line block ×5, first 2 shown]
	v_add_f32_e32 v10, v139, v51
	v_add_f32_e32 v8, v138, v50
	s_and_saveexec_b32 s1, s7
	s_cbranch_execz .LBB37_20
; %bb.19:
	v_dual_add_f32 v11, v12, v0 :: v_dual_add_f32 v18, v14, v2
	v_dual_add_f32 v19, v15, v6 :: v_dual_add_f32 v22, v10, v5
	;; [unrolled: 1-line block ×3, first 2 shown]
	s_wait_kmcnt 0x0
	s_delay_alu instid0(VALU_DEP_3) | instskip(NEXT) | instid1(VALU_DEP_3)
	v_dual_mul_f32 v11, s16, v11 :: v_dual_mul_f32 v18, s16, v18
	v_mul_f32_e32 v19, s16, v19
	s_delay_alu instid0(VALU_DEP_3) | instskip(NEXT) | instid1(VALU_DEP_3)
	v_dual_mul_f32 v17, s16, v17 :: v_dual_mul_f32 v20, s16, v20
	v_bfe_u32 v24, v11, 16, 1
	v_or_b32_e32 v26, 0x400000, v11
	v_bfe_u32 v27, v18, 16, 1
	v_cmp_u_f32_e64 s0, v11, v11
	v_add_f32_e32 v23, v8, v3
	v_add3_u32 v24, v24, v11, 0x7fff
	v_add_f32_e32 v21, v9, v4
	v_bfe_u32 v28, v19, 16, 1
	v_or_b32_e32 v29, 0x400000, v19
	v_bfe_u32 v25, v17, 16, 1
	s_wait_alu 0xf1ff
	v_cndmask_b32_e64 v11, v24, v26, s0
	v_add3_u32 v26, v27, v18, 0x7fff
	v_or_b32_e32 v27, 0x400000, v18
	v_cmp_u_f32_e64 s0, v18, v18
	v_add3_u32 v28, v28, v19, 0x7fff
	v_add3_u32 v25, v25, v17, 0x7fff
	v_or_b32_e32 v24, 0x400000, v17
	s_wait_alu 0xf1ff
	v_cndmask_b32_e64 v18, v26, v27, s0
	v_bfe_u32 v26, v20, 16, 1
	v_cmp_u_f32_e64 s0, v19, v19
	v_mul_f32_e32 v19, s16, v21
	v_dual_mul_f32 v21, s16, v22 :: v_dual_mul_f32 v22, s16, v23
	s_delay_alu instid0(VALU_DEP_4)
	v_add3_u32 v23, v26, v20, 0x7fff
	s_wait_alu 0xf1ff
	v_cndmask_b32_e64 v27, v28, v29, s0
	v_or_b32_e32 v26, 0x400000, v20
	v_bfe_u32 v28, v19, 16, 1
	v_bfe_u32 v29, v21, 16, 1
	v_cmp_u_f32_e64 s0, v20, v20
	v_bfe_u32 v30, v22, 16, 1
	v_or_b32_e32 v31, 0x400000, v19
	v_add3_u32 v20, v28, v19, 0x7fff
	v_or_b32_e32 v28, 0x400000, v21
	s_wait_alu 0xf1ff
	v_cndmask_b32_e64 v23, v23, v26, s0
	v_add3_u32 v26, v29, v21, 0x7fff
	v_cmp_u_f32_e64 s0, v21, v21
	v_add3_u32 v29, v30, v22, 0x7fff
	v_or_b32_e32 v30, 0x400000, v22
	v_perm_b32 v18, v27, v18, 0x7060302
	s_wait_alu 0xf1ff
	v_cndmask_b32_e64 v21, v26, v28, s0
	v_cmp_u_f32_e64 s0, v22, v22
	s_wait_alu 0xf1ff
	s_delay_alu instid0(VALU_DEP_1) | instskip(SKIP_2) | instid1(VALU_DEP_1)
	v_cndmask_b32_e64 v22, v29, v30, s0
	v_cmp_u_f32_e64 s0, v19, v19
	s_wait_alu 0xf1ff
	v_cndmask_b32_e64 v19, v20, v31, s0
	v_cmp_u_f32_e64 s0, v17, v17
	v_perm_b32 v20, v22, v21, 0x7060302
	s_delay_alu instid0(VALU_DEP_3) | instskip(SKIP_1) | instid1(VALU_DEP_3)
	v_perm_b32 v19, v19, v23, 0x7060302
	s_wait_alu 0xf1ff
	v_cndmask_b32_e64 v17, v25, v24, s0
	s_delay_alu instid0(VALU_DEP_1)
	v_perm_b32 v17, v17, v11, 0x7060302
	global_store_b128 v70, v[17:20], s[12:13]
.LBB37_20:
	s_wait_alu 0xfffe
	s_or_b32 exec_lo, exec_lo, s1
	v_dual_sub_f32 v20, v88, v90 :: v_dual_sub_f32 v21, v89, v91
	v_dual_sub_f32 v22, v92, v94 :: v_dual_sub_f32 v23, v93, v95
	;; [unrolled: 1-line block ×7, first 2 shown]
	v_sub_f32_e32 v25, v109, v117
	v_sub_f32_e32 v19, v111, v119
	s_and_saveexec_b32 s1, s6
	s_cbranch_execz .LBB37_22
; %bb.21:
	v_dual_add_f32 v32, v20, v27 :: v_dual_add_f32 v33, v21, v28
	v_dual_add_f32 v34, v22, v29 :: v_dual_add_f32 v35, v23, v30
	;; [unrolled: 1-line block ×3, first 2 shown]
	s_wait_kmcnt 0x0
	s_delay_alu instid0(VALU_DEP_3) | instskip(NEXT) | instid1(VALU_DEP_3)
	v_dual_mul_f32 v32, s16, v32 :: v_dual_mul_f32 v33, s16, v33
	v_dual_mul_f32 v34, s16, v34 :: v_dual_mul_f32 v35, s16, v35
	v_dual_add_f32 v38, v18, v26 :: v_dual_add_f32 v39, v11, v19
	s_delay_alu instid0(VALU_DEP_3) | instskip(SKIP_1) | instid1(VALU_DEP_4)
	v_bfe_u32 v45, v32, 16, 1
	v_or_b32_e32 v53, 0x400000, v32
	v_bfe_u32 v54, v34, 16, 1
	v_cmp_u_f32_e64 s0, v32, v32
	v_bfe_u32 v55, v35, 16, 1
	v_add3_u32 v45, v45, v32, 0x7fff
	v_mul_f32_e32 v36, s16, v36
	v_or_b32_e32 v56, 0x400000, v35
	v_bfe_u32 v52, v33, 16, 1
	v_add3_u32 v55, v55, v35, 0x7fff
	s_wait_alu 0xf1ff
	v_cndmask_b32_e64 v32, v45, v53, s0
	v_add3_u32 v53, v54, v34, 0x7fff
	v_or_b32_e32 v54, 0x400000, v34
	v_cmp_u_f32_e64 s0, v34, v34
	v_add3_u32 v52, v52, v33, 0x7fff
	v_or_b32_e32 v45, 0x400000, v33
	s_wait_alu 0xf1ff
	s_delay_alu instid0(VALU_DEP_3)
	v_cndmask_b32_e64 v53, v53, v54, s0
	v_cmp_u_f32_e64 s0, v35, v35
	v_mul_f32_e32 v35, s16, v37
	v_bfe_u32 v34, v36, 16, 1
	v_dual_mul_f32 v37, s16, v38 :: v_dual_mul_f32 v38, s16, v39
	s_wait_alu 0xf1ff
	v_cndmask_b32_e64 v54, v55, v56, s0
	v_or_b32_e32 v39, 0x400000, v36
	v_add3_u32 v34, v34, v36, 0x7fff
	v_bfe_u32 v55, v35, 16, 1
	v_bfe_u32 v56, v37, 16, 1
	v_cmp_u_f32_e64 s0, v36, v36
	v_bfe_u32 v57, v38, 16, 1
	v_or_b32_e32 v58, 0x400000, v35
	v_add3_u32 v36, v55, v35, 0x7fff
	v_or_b32_e32 v55, 0x400000, v37
	s_wait_alu 0xf1ff
	v_cndmask_b32_e64 v34, v34, v39, s0
	v_add3_u32 v39, v56, v37, 0x7fff
	v_cmp_u_f32_e64 s0, v37, v37
	v_add3_u32 v56, v57, v38, 0x7fff
	v_or_b32_e32 v57, 0x400000, v38
	s_wait_alu 0xf1ff
	s_delay_alu instid0(VALU_DEP_3) | instskip(SKIP_2) | instid1(VALU_DEP_1)
	v_cndmask_b32_e64 v37, v39, v55, s0
	v_cmp_u_f32_e64 s0, v38, v38
	s_wait_alu 0xf1ff
	v_cndmask_b32_e64 v38, v56, v57, s0
	v_cmp_u_f32_e64 s0, v35, v35
	s_delay_alu instid0(VALU_DEP_2) | instskip(SKIP_1) | instid1(VALU_DEP_2)
	v_perm_b32 v35, v38, v37, 0x7060302
	s_wait_alu 0xf1ff
	v_cndmask_b32_e64 v36, v36, v58, s0
	v_cmp_u_f32_e64 s0, v33, v33
	v_perm_b32 v33, v54, v53, 0x7060302
	s_delay_alu instid0(VALU_DEP_3) | instskip(SKIP_1) | instid1(VALU_DEP_3)
	v_perm_b32 v34, v36, v34, 0x7060302
	s_wait_alu 0xf1ff
	v_cndmask_b32_e64 v39, v52, v45, s0
	s_delay_alu instid0(VALU_DEP_1)
	v_perm_b32 v32, v39, v32, 0x7060302
	global_store_b128 v69, v[32:35], s[12:13]
.LBB37_22:
	s_wait_alu 0xfffe
	s_or_b32 exec_lo, exec_lo, s1
	v_dual_sub_f32 v35, v71, v122 :: v_dual_sub_f32 v34, v132, v133
	v_dual_sub_f32 v37, v120, v121 :: v_dual_sub_f32 v36, v125, v126
	;; [unrolled: 1-line block ×3, first 2 shown]
	v_sub_f32_e32 v33, v127, v129
	v_dual_sub_f32 v32, v131, v134 :: v_dual_sub_f32 v43, v41, v43
	v_dual_sub_f32 v45, v40, v44 :: v_dual_sub_f32 v44, v135, v46
	;; [unrolled: 1-line block ×4, first 2 shown]
	v_sub_f32_e32 v42, v139, v51
	s_and_saveexec_b32 s1, s5
	s_cbranch_execnz .LBB37_28
; %bb.23:
	s_wait_alu 0xfffe
	s_or_b32 exec_lo, exec_lo, s1
	s_and_saveexec_b32 s1, s4
	s_cbranch_execnz .LBB37_29
.LBB37_24:
	s_wait_alu 0xfffe
	s_or_b32 exec_lo, exec_lo, s1
	s_and_saveexec_b32 s1, s3
	s_cbranch_execnz .LBB37_30
.LBB37_25:
	s_wait_alu 0xfffe
	s_or_b32 exec_lo, exec_lo, s1
	s_and_saveexec_b32 s1, s2
	s_cbranch_execnz .LBB37_31
.LBB37_26:
	s_wait_alu 0xfffe
	s_or_b32 exec_lo, exec_lo, s1
	s_and_saveexec_b32 s0, vcc_lo
	s_cbranch_execnz .LBB37_32
.LBB37_27:
	s_nop 0
	s_sendmsg sendmsg(MSG_DEALLOC_VGPRS)
	s_endpgm
.LBB37_28:
	v_dual_add_f32 v48, v37, v45 :: v_dual_add_f32 v49, v35, v43
	v_dual_add_f32 v50, v38, v46 :: v_dual_add_f32 v51, v36, v44
	;; [unrolled: 1-line block ×3, first 2 shown]
	s_wait_kmcnt 0x0
	s_delay_alu instid0(VALU_DEP_3) | instskip(NEXT) | instid1(VALU_DEP_3)
	v_dual_mul_f32 v48, s16, v48 :: v_dual_mul_f32 v49, s16, v49
	v_dual_mul_f32 v50, s16, v50 :: v_dual_mul_f32 v51, s16, v51
	v_dual_add_f32 v54, v34, v42 :: v_dual_add_f32 v55, v32, v40
	s_delay_alu instid0(VALU_DEP_3) | instskip(SKIP_1) | instid1(VALU_DEP_4)
	v_bfe_u32 v56, v48, 16, 1
	v_or_b32_e32 v58, 0x400000, v48
	v_bfe_u32 v59, v50, 16, 1
	v_cmp_u_f32_e64 s0, v48, v48
	v_bfe_u32 v60, v51, 16, 1
	v_add3_u32 v56, v56, v48, 0x7fff
	v_mul_f32_e32 v52, s16, v52
	v_or_b32_e32 v61, 0x400000, v51
	v_bfe_u32 v57, v49, 16, 1
	v_add3_u32 v60, v60, v51, 0x7fff
	s_wait_alu 0xf1ff
	v_cndmask_b32_e64 v48, v56, v58, s0
	v_add3_u32 v58, v59, v50, 0x7fff
	v_or_b32_e32 v59, 0x400000, v50
	v_cmp_u_f32_e64 s0, v50, v50
	v_add3_u32 v57, v57, v49, 0x7fff
	v_or_b32_e32 v56, 0x400000, v49
	s_wait_alu 0xf1ff
	s_delay_alu instid0(VALU_DEP_3)
	v_cndmask_b32_e64 v58, v58, v59, s0
	v_cmp_u_f32_e64 s0, v51, v51
	v_mul_f32_e32 v51, s16, v53
	v_bfe_u32 v50, v52, 16, 1
	v_dual_mul_f32 v53, s16, v54 :: v_dual_mul_f32 v54, s16, v55
	s_wait_alu 0xf1ff
	v_cndmask_b32_e64 v59, v60, v61, s0
	v_or_b32_e32 v55, 0x400000, v52
	v_add3_u32 v50, v50, v52, 0x7fff
	v_bfe_u32 v60, v51, 16, 1
	v_bfe_u32 v61, v53, 16, 1
	v_cmp_u_f32_e64 s0, v52, v52
	v_bfe_u32 v62, v54, 16, 1
	v_or_b32_e32 v63, 0x400000, v51
	v_add3_u32 v52, v60, v51, 0x7fff
	v_or_b32_e32 v60, 0x400000, v53
	s_wait_alu 0xf1ff
	v_cndmask_b32_e64 v50, v50, v55, s0
	v_add3_u32 v55, v61, v53, 0x7fff
	v_cmp_u_f32_e64 s0, v53, v53
	v_add3_u32 v61, v62, v54, 0x7fff
	v_or_b32_e32 v62, 0x400000, v54
	s_wait_alu 0xf1ff
	s_delay_alu instid0(VALU_DEP_3) | instskip(SKIP_2) | instid1(VALU_DEP_1)
	v_cndmask_b32_e64 v53, v55, v60, s0
	v_cmp_u_f32_e64 s0, v54, v54
	s_wait_alu 0xf1ff
	v_cndmask_b32_e64 v54, v61, v62, s0
	v_cmp_u_f32_e64 s0, v51, v51
	s_delay_alu instid0(VALU_DEP_2) | instskip(SKIP_1) | instid1(VALU_DEP_2)
	v_perm_b32 v51, v54, v53, 0x7060302
	s_wait_alu 0xf1ff
	v_cndmask_b32_e64 v52, v52, v63, s0
	v_cmp_u_f32_e64 s0, v49, v49
	v_perm_b32 v49, v59, v58, 0x7060302
	s_delay_alu instid0(VALU_DEP_3) | instskip(SKIP_1) | instid1(VALU_DEP_3)
	v_perm_b32 v50, v52, v50, 0x7060302
	s_wait_alu 0xf1ff
	v_cndmask_b32_e64 v55, v57, v56, s0
	s_delay_alu instid0(VALU_DEP_1)
	v_perm_b32 v48, v55, v48, 0x7060302
	global_store_b128 v68, v[48:51], s[12:13]
	s_wait_alu 0xfffe
	s_or_b32 exec_lo, exec_lo, s1
	s_and_saveexec_b32 s1, s4
	s_cbranch_execz .LBB37_24
.LBB37_29:
	v_dual_sub_f32 v48, v72, v83 :: v_dual_sub_f32 v49, v73, v84
	v_dual_sub_f32 v50, v74, v85 :: v_dual_sub_f32 v55, v75, v80
	;; [unrolled: 1-line block ×3, first 2 shown]
	s_wait_kmcnt 0x0
	s_delay_alu instid0(VALU_DEP_3) | instskip(NEXT) | instid1(VALU_DEP_2)
	v_dual_mul_f32 v48, s16, v48 :: v_dual_sub_f32 v53, v76, v81
	v_dual_mul_f32 v50, s16, v50 :: v_dual_mul_f32 v51, s16, v51
	v_dual_sub_f32 v54, v77, v82 :: v_dual_mul_f32 v49, s16, v49
	s_delay_alu instid0(VALU_DEP_3) | instskip(SKIP_1) | instid1(VALU_DEP_4)
	v_bfe_u32 v56, v48, 16, 1
	v_or_b32_e32 v58, 0x400000, v48
	v_bfe_u32 v59, v50, 16, 1
	v_cmp_u_f32_e64 s0, v48, v48
	v_bfe_u32 v60, v51, 16, 1
	v_add3_u32 v56, v56, v48, 0x7fff
	v_mul_f32_e32 v52, s16, v52
	v_or_b32_e32 v61, 0x400000, v51
	v_bfe_u32 v57, v49, 16, 1
	v_add3_u32 v60, v60, v51, 0x7fff
	s_wait_alu 0xf1ff
	v_cndmask_b32_e64 v48, v56, v58, s0
	v_add3_u32 v58, v59, v50, 0x7fff
	v_or_b32_e32 v59, 0x400000, v50
	v_cmp_u_f32_e64 s0, v50, v50
	v_add3_u32 v57, v57, v49, 0x7fff
	v_or_b32_e32 v56, 0x400000, v49
	s_wait_alu 0xf1ff
	s_delay_alu instid0(VALU_DEP_3)
	v_cndmask_b32_e64 v58, v58, v59, s0
	v_cmp_u_f32_e64 s0, v51, v51
	v_mul_f32_e32 v51, s16, v53
	v_bfe_u32 v50, v52, 16, 1
	v_dual_mul_f32 v53, s16, v54 :: v_dual_mul_f32 v54, s16, v55
	s_wait_alu 0xf1ff
	v_cndmask_b32_e64 v59, v60, v61, s0
	v_or_b32_e32 v55, 0x400000, v52
	v_add3_u32 v50, v50, v52, 0x7fff
	v_bfe_u32 v60, v51, 16, 1
	v_bfe_u32 v61, v53, 16, 1
	v_cmp_u_f32_e64 s0, v52, v52
	v_bfe_u32 v62, v54, 16, 1
	v_or_b32_e32 v63, 0x400000, v51
	v_add3_u32 v52, v60, v51, 0x7fff
	v_or_b32_e32 v60, 0x400000, v53
	s_wait_alu 0xf1ff
	v_cndmask_b32_e64 v50, v50, v55, s0
	v_add3_u32 v55, v61, v53, 0x7fff
	v_cmp_u_f32_e64 s0, v53, v53
	v_add3_u32 v61, v62, v54, 0x7fff
	v_or_b32_e32 v62, 0x400000, v54
	s_wait_alu 0xf1ff
	s_delay_alu instid0(VALU_DEP_3) | instskip(SKIP_2) | instid1(VALU_DEP_1)
	v_cndmask_b32_e64 v53, v55, v60, s0
	v_cmp_u_f32_e64 s0, v54, v54
	s_wait_alu 0xf1ff
	v_cndmask_b32_e64 v54, v61, v62, s0
	v_cmp_u_f32_e64 s0, v51, v51
	s_delay_alu instid0(VALU_DEP_2) | instskip(SKIP_1) | instid1(VALU_DEP_2)
	v_perm_b32 v51, v54, v53, 0x7060302
	s_wait_alu 0xf1ff
	v_cndmask_b32_e64 v52, v52, v63, s0
	v_cmp_u_f32_e64 s0, v49, v49
	v_perm_b32 v49, v59, v58, 0x7060302
	s_delay_alu instid0(VALU_DEP_3) | instskip(SKIP_1) | instid1(VALU_DEP_3)
	v_perm_b32 v50, v52, v50, 0x7060302
	s_wait_alu 0xf1ff
	v_cndmask_b32_e64 v55, v57, v56, s0
	s_delay_alu instid0(VALU_DEP_1)
	v_perm_b32 v48, v55, v48, 0x7060302
	global_store_b128 v67, v[48:51], s[12:13]
	s_wait_alu 0xfffe
	s_or_b32 exec_lo, exec_lo, s1
	s_and_saveexec_b32 s1, s3
	s_cbranch_execz .LBB37_25
.LBB37_30:
	v_dual_sub_f32 v0, v0, v12 :: v_dual_sub_f32 v1, v1, v13
	v_dual_sub_f32 v2, v2, v14 :: v_dual_sub_f32 v7, v7, v16
	;; [unrolled: 1-line block ×3, first 2 shown]
	s_wait_kmcnt 0x0
	s_delay_alu instid0(VALU_DEP_3) | instskip(SKIP_2) | instid1(VALU_DEP_3)
	v_dual_mul_f32 v0, s16, v0 :: v_dual_mul_f32 v1, s16, v1
	v_dual_sub_f32 v4, v4, v9 :: v_dual_sub_f32 v3, v3, v8
	v_dual_mul_f32 v2, s16, v2 :: v_dual_mul_f32 v7, s16, v7
	v_bfe_u32 v8, v0, 16, 1
	v_dual_mul_f32 v6, s16, v6 :: v_dual_mul_f32 v5, s16, v5
	v_or_b32_e32 v10, 0x400000, v0
	s_delay_alu instid0(VALU_DEP_4) | instskip(NEXT) | instid1(VALU_DEP_4)
	v_bfe_u32 v12, v2, 16, 1
	v_add3_u32 v8, v8, v0, 0x7fff
	v_cmp_u_f32_e64 s0, v0, v0
	v_bfe_u32 v13, v6, 16, 1
	v_or_b32_e32 v14, 0x400000, v6
	v_dual_mul_f32 v4, s16, v4 :: v_dual_mul_f32 v3, s16, v3
	s_wait_alu 0xf1ff
	v_cndmask_b32_e64 v0, v8, v10, s0
	v_add3_u32 v10, v12, v2, 0x7fff
	v_or_b32_e32 v12, 0x400000, v2
	v_cmp_u_f32_e64 s0, v2, v2
	v_add3_u32 v13, v13, v6, 0x7fff
	v_bfe_u32 v2, v7, 16, 1
	v_bfe_u32 v15, v3, 16, 1
	;; [unrolled: 1-line block ×3, first 2 shown]
	s_wait_alu 0xf1ff
	v_cndmask_b32_e64 v10, v10, v12, s0
	v_cmp_u_f32_e64 s0, v6, v6
	v_add3_u32 v2, v2, v7, 0x7fff
	v_or_b32_e32 v12, 0x400000, v7
	v_or_b32_e32 v16, 0x400000, v4
	v_add3_u32 v9, v9, v1, 0x7fff
	s_wait_alu 0xf1ff
	v_cndmask_b32_e64 v6, v13, v14, s0
	v_bfe_u32 v13, v4, 16, 1
	v_bfe_u32 v14, v5, 16, 1
	v_cmp_u_f32_e64 s0, v7, v7
	v_or_b32_e32 v8, 0x400000, v1
	s_delay_alu instid0(VALU_DEP_4)
	v_add3_u32 v7, v13, v4, 0x7fff
	v_or_b32_e32 v13, 0x400000, v5
	s_wait_alu 0xf1ff
	v_cndmask_b32_e64 v2, v2, v12, s0
	v_add3_u32 v12, v14, v5, 0x7fff
	v_cmp_u_f32_e64 s0, v5, v5
	v_add3_u32 v14, v15, v3, 0x7fff
	v_or_b32_e32 v15, 0x400000, v3
	s_wait_alu 0xf1ff
	s_delay_alu instid0(VALU_DEP_3) | instskip(SKIP_2) | instid1(VALU_DEP_1)
	v_cndmask_b32_e64 v5, v12, v13, s0
	v_cmp_u_f32_e64 s0, v3, v3
	s_wait_alu 0xf1ff
	v_cndmask_b32_e64 v3, v14, v15, s0
	v_cmp_u_f32_e64 s0, v4, v4
	s_delay_alu instid0(VALU_DEP_2) | instskip(SKIP_1) | instid1(VALU_DEP_2)
	v_perm_b32 v3, v3, v5, 0x7060302
	s_wait_alu 0xf1ff
	v_cndmask_b32_e64 v4, v7, v16, s0
	v_cmp_u_f32_e64 s0, v1, v1
	v_perm_b32 v1, v6, v10, 0x7060302
	s_delay_alu instid0(VALU_DEP_3) | instskip(SKIP_1) | instid1(VALU_DEP_3)
	v_perm_b32 v2, v4, v2, 0x7060302
	s_wait_alu 0xf1ff
	v_cndmask_b32_e64 v7, v9, v8, s0
	s_delay_alu instid0(VALU_DEP_1)
	v_perm_b32 v0, v7, v0, 0x7060302
	global_store_b128 v66, v[0:3], s[12:13]
	s_wait_alu 0xfffe
	s_or_b32 exec_lo, exec_lo, s1
	s_and_saveexec_b32 s1, s2
	s_cbranch_execz .LBB37_26
.LBB37_31:
	v_dual_sub_f32 v0, v20, v27 :: v_dual_sub_f32 v1, v21, v28
	v_dual_sub_f32 v2, v22, v29 :: v_dual_sub_f32 v3, v23, v30
	;; [unrolled: 1-line block ×3, first 2 shown]
	s_wait_kmcnt 0x0
	s_delay_alu instid0(VALU_DEP_3) | instskip(NEXT) | instid1(VALU_DEP_3)
	v_dual_mul_f32 v0, s16, v0 :: v_dual_mul_f32 v1, s16, v1
	v_dual_mul_f32 v2, s16, v2 :: v_dual_mul_f32 v3, s16, v3
	v_dual_sub_f32 v6, v18, v26 :: v_dual_sub_f32 v7, v11, v19
	s_delay_alu instid0(VALU_DEP_3) | instskip(SKIP_1) | instid1(VALU_DEP_4)
	v_bfe_u32 v8, v0, 16, 1
	v_or_b32_e32 v10, 0x400000, v0
	v_bfe_u32 v11, v2, 16, 1
	v_cmp_u_f32_e64 s0, v0, v0
	v_bfe_u32 v12, v3, 16, 1
	v_add3_u32 v8, v8, v0, 0x7fff
	v_mul_f32_e32 v4, s16, v4
	v_or_b32_e32 v13, 0x400000, v3
	v_bfe_u32 v9, v1, 16, 1
	v_add3_u32 v12, v12, v3, 0x7fff
	s_wait_alu 0xf1ff
	v_cndmask_b32_e64 v0, v8, v10, s0
	v_add3_u32 v10, v11, v2, 0x7fff
	v_or_b32_e32 v11, 0x400000, v2
	v_cmp_u_f32_e64 s0, v2, v2
	v_add3_u32 v9, v9, v1, 0x7fff
	v_or_b32_e32 v8, 0x400000, v1
	s_wait_alu 0xf1ff
	s_delay_alu instid0(VALU_DEP_3)
	v_cndmask_b32_e64 v10, v10, v11, s0
	v_cmp_u_f32_e64 s0, v3, v3
	v_mul_f32_e32 v3, s16, v5
	v_bfe_u32 v2, v4, 16, 1
	v_dual_mul_f32 v5, s16, v6 :: v_dual_mul_f32 v6, s16, v7
	s_wait_alu 0xf1ff
	v_cndmask_b32_e64 v11, v12, v13, s0
	v_or_b32_e32 v7, 0x400000, v4
	v_add3_u32 v2, v2, v4, 0x7fff
	v_bfe_u32 v12, v3, 16, 1
	v_bfe_u32 v13, v5, 16, 1
	v_cmp_u_f32_e64 s0, v4, v4
	v_bfe_u32 v14, v6, 16, 1
	v_or_b32_e32 v15, 0x400000, v3
	v_add3_u32 v4, v12, v3, 0x7fff
	v_or_b32_e32 v12, 0x400000, v5
	s_wait_alu 0xf1ff
	v_cndmask_b32_e64 v2, v2, v7, s0
	v_add3_u32 v7, v13, v5, 0x7fff
	v_cmp_u_f32_e64 s0, v5, v5
	v_add3_u32 v13, v14, v6, 0x7fff
	v_or_b32_e32 v14, 0x400000, v6
	s_wait_alu 0xf1ff
	s_delay_alu instid0(VALU_DEP_3) | instskip(SKIP_2) | instid1(VALU_DEP_1)
	v_cndmask_b32_e64 v5, v7, v12, s0
	v_cmp_u_f32_e64 s0, v6, v6
	s_wait_alu 0xf1ff
	v_cndmask_b32_e64 v6, v13, v14, s0
	v_cmp_u_f32_e64 s0, v3, v3
	s_delay_alu instid0(VALU_DEP_2) | instskip(SKIP_1) | instid1(VALU_DEP_2)
	v_perm_b32 v3, v6, v5, 0x7060302
	s_wait_alu 0xf1ff
	v_cndmask_b32_e64 v4, v4, v15, s0
	v_cmp_u_f32_e64 s0, v1, v1
	v_perm_b32 v1, v11, v10, 0x7060302
	s_delay_alu instid0(VALU_DEP_3) | instskip(SKIP_1) | instid1(VALU_DEP_3)
	v_perm_b32 v2, v4, v2, 0x7060302
	s_wait_alu 0xf1ff
	v_cndmask_b32_e64 v7, v9, v8, s0
	s_delay_alu instid0(VALU_DEP_1)
	v_perm_b32 v0, v7, v0, 0x7060302
	global_store_b128 v65, v[0:3], s[12:13]
	s_wait_alu 0xfffe
	s_or_b32 exec_lo, exec_lo, s1
	s_and_saveexec_b32 s0, vcc_lo
	s_cbranch_execz .LBB37_27
.LBB37_32:
	v_dual_sub_f32 v0, v37, v45 :: v_dual_sub_f32 v1, v35, v43
	v_dual_sub_f32 v2, v38, v46 :: v_dual_sub_f32 v3, v36, v44
	;; [unrolled: 1-line block ×3, first 2 shown]
	s_wait_kmcnt 0x0
	s_delay_alu instid0(VALU_DEP_3) | instskip(NEXT) | instid1(VALU_DEP_3)
	v_dual_mul_f32 v0, s16, v0 :: v_dual_mul_f32 v1, s16, v1
	v_dual_mul_f32 v2, s16, v2 :: v_dual_mul_f32 v3, s16, v3
	v_dual_sub_f32 v6, v34, v42 :: v_dual_sub_f32 v7, v32, v40
	s_delay_alu instid0(VALU_DEP_3) | instskip(SKIP_1) | instid1(VALU_DEP_4)
	v_bfe_u32 v8, v0, 16, 1
	v_or_b32_e32 v10, 0x400000, v0
	v_bfe_u32 v11, v2, 16, 1
	v_cmp_u_f32_e32 vcc_lo, v0, v0
	v_bfe_u32 v12, v3, 16, 1
	v_add3_u32 v8, v8, v0, 0x7fff
	v_or_b32_e32 v13, 0x400000, v3
	v_bfe_u32 v9, v1, 16, 1
	s_delay_alu instid0(VALU_DEP_4) | instskip(NEXT) | instid1(VALU_DEP_4)
	v_add3_u32 v12, v12, v3, 0x7fff
	v_cndmask_b32_e32 v0, v8, v10, vcc_lo
	v_add3_u32 v10, v11, v2, 0x7fff
	v_or_b32_e32 v11, 0x400000, v2
	v_cmp_u_f32_e32 vcc_lo, v2, v2
	v_add3_u32 v9, v9, v1, 0x7fff
	v_or_b32_e32 v8, 0x400000, v1
	s_wait_alu 0xfffd
	v_cndmask_b32_e32 v10, v10, v11, vcc_lo
	v_cmp_u_f32_e32 vcc_lo, v3, v3
	v_dual_mul_f32 v4, s16, v4 :: v_dual_mul_f32 v3, s16, v5
	v_dual_mul_f32 v5, s16, v6 :: v_dual_mul_f32 v6, s16, v7
	s_wait_alu 0xfffd
	v_cndmask_b32_e32 v11, v12, v13, vcc_lo
	s_delay_alu instid0(VALU_DEP_3)
	v_bfe_u32 v2, v4, 16, 1
	v_or_b32_e32 v7, 0x400000, v4
	v_bfe_u32 v12, v3, 16, 1
	v_bfe_u32 v13, v5, 16, 1
	v_cmp_u_f32_e32 vcc_lo, v4, v4
	v_add3_u32 v2, v2, v4, 0x7fff
	v_or_b32_e32 v15, 0x400000, v3
	v_add3_u32 v4, v12, v3, 0x7fff
	v_or_b32_e32 v12, 0x400000, v5
	s_wait_alu 0xfffd
	v_cndmask_b32_e32 v2, v2, v7, vcc_lo
	v_add3_u32 v7, v13, v5, 0x7fff
	v_cmp_u_f32_e32 vcc_lo, v5, v5
	s_wait_alu 0xfffd
	s_delay_alu instid0(VALU_DEP_2) | instskip(SKIP_2) | instid1(VALU_DEP_2)
	v_cndmask_b32_e32 v5, v7, v12, vcc_lo
	v_bfe_u32 v14, v6, 16, 1
	v_cmp_u_f32_e32 vcc_lo, v6, v6
	v_add3_u32 v13, v14, v6, 0x7fff
	v_or_b32_e32 v14, 0x400000, v6
	s_wait_alu 0xfffd
	s_delay_alu instid0(VALU_DEP_1) | instskip(SKIP_1) | instid1(VALU_DEP_2)
	v_cndmask_b32_e32 v6, v13, v14, vcc_lo
	v_cmp_u_f32_e32 vcc_lo, v3, v3
	v_perm_b32 v3, v6, v5, 0x7060302
	s_wait_alu 0xfffd
	v_cndmask_b32_e32 v4, v4, v15, vcc_lo
	v_cmp_u_f32_e32 vcc_lo, v1, v1
	v_perm_b32 v1, v11, v10, 0x7060302
	s_wait_alu 0xfffd
	v_cndmask_b32_e32 v7, v9, v8, vcc_lo
	v_perm_b32 v2, v4, v2, 0x7060302
	s_delay_alu instid0(VALU_DEP_2)
	v_perm_b32 v0, v7, v0, 0x7060302
	global_store_b128 v64, v[0:3], s[12:13]
	s_nop 0
	s_sendmsg sendmsg(MSG_DEALLOC_VGPRS)
	s_endpgm
	.section	.rodata,"a",@progbits
	.p2align	6, 0x0
	.amdhsa_kernel _Z30fast_hadamard_transform_kernelI37fast_hadamard_transform_kernel_traitsILi256ELi14E14__hip_bfloat16EEv18HadamardParamsBase
		.amdhsa_group_segment_fixed_size 0
		.amdhsa_private_segment_fixed_size 0
		.amdhsa_kernarg_size 312
		.amdhsa_user_sgpr_count 2
		.amdhsa_user_sgpr_dispatch_ptr 0
		.amdhsa_user_sgpr_queue_ptr 0
		.amdhsa_user_sgpr_kernarg_segment_ptr 1
		.amdhsa_user_sgpr_dispatch_id 0
		.amdhsa_user_sgpr_private_segment_size 0
		.amdhsa_wavefront_size32 1
		.amdhsa_uses_dynamic_stack 0
		.amdhsa_enable_private_segment 0
		.amdhsa_system_sgpr_workgroup_id_x 1
		.amdhsa_system_sgpr_workgroup_id_y 0
		.amdhsa_system_sgpr_workgroup_id_z 0
		.amdhsa_system_sgpr_workgroup_info 0
		.amdhsa_system_vgpr_workitem_id 0
		.amdhsa_next_free_vgpr 140
		.amdhsa_next_free_sgpr 22
		.amdhsa_reserve_vcc 1
		.amdhsa_float_round_mode_32 0
		.amdhsa_float_round_mode_16_64 0
		.amdhsa_float_denorm_mode_32 3
		.amdhsa_float_denorm_mode_16_64 3
		.amdhsa_fp16_overflow 0
		.amdhsa_workgroup_processor_mode 1
		.amdhsa_memory_ordered 1
		.amdhsa_forward_progress 1
		.amdhsa_inst_pref_size 151
		.amdhsa_round_robin_scheduling 0
		.amdhsa_exception_fp_ieee_invalid_op 0
		.amdhsa_exception_fp_denorm_src 0
		.amdhsa_exception_fp_ieee_div_zero 0
		.amdhsa_exception_fp_ieee_overflow 0
		.amdhsa_exception_fp_ieee_underflow 0
		.amdhsa_exception_fp_ieee_inexact 0
		.amdhsa_exception_int_div_zero 0
	.end_amdhsa_kernel
	.section	.text._Z30fast_hadamard_transform_kernelI37fast_hadamard_transform_kernel_traitsILi256ELi14E14__hip_bfloat16EEv18HadamardParamsBase,"axG",@progbits,_Z30fast_hadamard_transform_kernelI37fast_hadamard_transform_kernel_traitsILi256ELi14E14__hip_bfloat16EEv18HadamardParamsBase,comdat
.Lfunc_end37:
	.size	_Z30fast_hadamard_transform_kernelI37fast_hadamard_transform_kernel_traitsILi256ELi14E14__hip_bfloat16EEv18HadamardParamsBase, .Lfunc_end37-_Z30fast_hadamard_transform_kernelI37fast_hadamard_transform_kernel_traitsILi256ELi14E14__hip_bfloat16EEv18HadamardParamsBase
                                        ; -- End function
	.set _Z30fast_hadamard_transform_kernelI37fast_hadamard_transform_kernel_traitsILi256ELi14E14__hip_bfloat16EEv18HadamardParamsBase.num_vgpr, 140
	.set _Z30fast_hadamard_transform_kernelI37fast_hadamard_transform_kernel_traitsILi256ELi14E14__hip_bfloat16EEv18HadamardParamsBase.num_agpr, 0
	.set _Z30fast_hadamard_transform_kernelI37fast_hadamard_transform_kernel_traitsILi256ELi14E14__hip_bfloat16EEv18HadamardParamsBase.numbered_sgpr, 22
	.set _Z30fast_hadamard_transform_kernelI37fast_hadamard_transform_kernel_traitsILi256ELi14E14__hip_bfloat16EEv18HadamardParamsBase.num_named_barrier, 0
	.set _Z30fast_hadamard_transform_kernelI37fast_hadamard_transform_kernel_traitsILi256ELi14E14__hip_bfloat16EEv18HadamardParamsBase.private_seg_size, 0
	.set _Z30fast_hadamard_transform_kernelI37fast_hadamard_transform_kernel_traitsILi256ELi14E14__hip_bfloat16EEv18HadamardParamsBase.uses_vcc, 1
	.set _Z30fast_hadamard_transform_kernelI37fast_hadamard_transform_kernel_traitsILi256ELi14E14__hip_bfloat16EEv18HadamardParamsBase.uses_flat_scratch, 0
	.set _Z30fast_hadamard_transform_kernelI37fast_hadamard_transform_kernel_traitsILi256ELi14E14__hip_bfloat16EEv18HadamardParamsBase.has_dyn_sized_stack, 0
	.set _Z30fast_hadamard_transform_kernelI37fast_hadamard_transform_kernel_traitsILi256ELi14E14__hip_bfloat16EEv18HadamardParamsBase.has_recursion, 0
	.set _Z30fast_hadamard_transform_kernelI37fast_hadamard_transform_kernel_traitsILi256ELi14E14__hip_bfloat16EEv18HadamardParamsBase.has_indirect_call, 0
	.section	.AMDGPU.csdata,"",@progbits
; Kernel info:
; codeLenInByte = 19324
; TotalNumSgprs: 24
; NumVgprs: 140
; ScratchSize: 0
; MemoryBound: 0
; FloatMode: 240
; IeeeMode: 1
; LDSByteSize: 0 bytes/workgroup (compile time only)
; SGPRBlocks: 0
; VGPRBlocks: 17
; NumSGPRsForWavesPerEU: 24
; NumVGPRsForWavesPerEU: 140
; Occupancy: 10
; WaveLimiterHint : 0
; COMPUTE_PGM_RSRC2:SCRATCH_EN: 0
; COMPUTE_PGM_RSRC2:USER_SGPR: 2
; COMPUTE_PGM_RSRC2:TRAP_HANDLER: 0
; COMPUTE_PGM_RSRC2:TGID_X_EN: 1
; COMPUTE_PGM_RSRC2:TGID_Y_EN: 0
; COMPUTE_PGM_RSRC2:TGID_Z_EN: 0
; COMPUTE_PGM_RSRC2:TIDIG_COMP_CNT: 0
	.section	.text._Z30fast_hadamard_transform_kernelI37fast_hadamard_transform_kernel_traitsILi256ELi15E14__hip_bfloat16EEv18HadamardParamsBase,"axG",@progbits,_Z30fast_hadamard_transform_kernelI37fast_hadamard_transform_kernel_traitsILi256ELi15E14__hip_bfloat16EEv18HadamardParamsBase,comdat
	.protected	_Z30fast_hadamard_transform_kernelI37fast_hadamard_transform_kernel_traitsILi256ELi15E14__hip_bfloat16EEv18HadamardParamsBase ; -- Begin function _Z30fast_hadamard_transform_kernelI37fast_hadamard_transform_kernel_traitsILi256ELi15E14__hip_bfloat16EEv18HadamardParamsBase
	.globl	_Z30fast_hadamard_transform_kernelI37fast_hadamard_transform_kernel_traitsILi256ELi15E14__hip_bfloat16EEv18HadamardParamsBase
	.p2align	8
	.type	_Z30fast_hadamard_transform_kernelI37fast_hadamard_transform_kernel_traitsILi256ELi15E14__hip_bfloat16EEv18HadamardParamsBase,@function
_Z30fast_hadamard_transform_kernelI37fast_hadamard_transform_kernel_traitsILi256ELi15E14__hip_bfloat16EEv18HadamardParamsBase: ; @_Z30fast_hadamard_transform_kernelI37fast_hadamard_transform_kernel_traitsILi256ELi15E14__hip_bfloat16EEv18HadamardParamsBase
; %bb.0:
	s_clause 0x3
	s_load_b128 s[24:27], s[0:1], 0x10
	s_load_b32 s17, s[0:1], 0x4
	s_load_b128 s[20:23], s[0:1], 0x28
	s_load_b32 s2, s[0:1], 0x44
	v_dual_mov_b32 v5, 0 :: v_dual_lshlrev_b32 v6, 3, v0
	s_mov_b32 s28, ttmp9
	s_ashr_i32 s29, ttmp9, 31
	v_dual_mov_b32 v1, 0 :: v_dual_mov_b32 v2, 0
	v_dual_mov_b32 v3, 0 :: v_dual_mov_b32 v4, 0
	;; [unrolled: 1-line block ×3, first 2 shown]
	v_dual_mov_b32 v15, 0 :: v_dual_lshlrev_b32 v146, 4, v0
	v_mov_b32_e32 v14, 0
	s_wait_kmcnt 0x0
	s_mul_u64 s[4:5], s[24:25], s[28:29]
	v_cmp_gt_u32_e64 s16, s17, v6
	s_lshl_b64 s[4:5], s[4:5], 1
	s_delay_alu instid0(SALU_CYCLE_1)
	s_add_nc_u64 s[18:19], s[20:21], s[4:5]
	s_and_saveexec_b32 s3, s16
	s_cbranch_execz .LBB38_2
; %bb.1:
	global_load_b128 v[8:11], v146, s[18:19]
	s_wait_loadcnt 0x0
	v_lshlrev_b32_e32 v15, 16, v8
	v_and_b32_e32 v14, 0xffff0000, v8
	v_lshlrev_b32_e32 v8, 16, v9
	v_and_b32_e32 v7, 0xffff0000, v9
	;; [unrolled: 2-line block ×4, first 2 shown]
.LBB38_2:
	s_or_b32 exec_lo, exec_lo, s3
	s_and_b32 s20, 0xffff, s2
	v_dual_mov_b32 v9, 0 :: v_dual_mov_b32 v10, 0
	v_dual_mov_b32 v6, 0 :: v_dual_add_nc_u32 v11, s20, v0
	v_dual_mov_b32 v16, 0 :: v_dual_mov_b32 v21, 0
	s_delay_alu instid0(VALU_DEP_2) | instskip(SKIP_1) | instid1(VALU_DEP_2)
	v_dual_mov_b32 v17, 0 :: v_dual_lshlrev_b32 v12, 3, v11
	v_dual_mov_b32 v22, 0 :: v_dual_lshlrev_b32 v13, 4, v11
	v_cmp_gt_u32_e64 s15, s17, v12
	scratch_store_b32 off, v13, off offset:68 ; 4-byte Folded Spill
	s_and_saveexec_b32 s2, s15
	s_cbranch_execz .LBB38_4
; %bb.3:
	v_lshlrev_b32_e32 v1, 4, v11
	global_load_b128 v[17:20], v1, s[18:19]
	s_wait_loadcnt 0x0
	v_lshlrev_b32_e32 v22, 16, v17
	v_and_b32_e32 v21, 0xffff0000, v17
	v_lshlrev_b32_e32 v17, 16, v18
	v_and_b32_e32 v16, 0xffff0000, v18
	v_lshlrev_b32_e32 v10, 16, v19
	v_and_b32_e32 v9, 0xffff0000, v19
	v_lshlrev_b32_e32 v6, 16, v20
	v_and_b32_e32 v1, 0xffff0000, v20
.LBB38_4:
	s_or_b32 exec_lo, exec_lo, s2
	v_dual_mov_b32 v11, 0 :: v_dual_add_nc_u32 v20, s20, v11
	v_mov_b32_e32 v18, 0
	v_dual_mov_b32 v12, 0 :: v_dual_mov_b32 v13, 0
	s_delay_alu instid0(VALU_DEP_3) | instskip(SKIP_2) | instid1(VALU_DEP_3)
	v_lshlrev_b32_e32 v25, 3, v20
	v_dual_mov_b32 v19, 0 :: v_dual_mov_b32 v24, 0
	v_dual_mov_b32 v23, 0 :: v_dual_lshlrev_b32 v26, 4, v20
	v_cmp_gt_u32_e64 s14, s17, v25
	v_dual_mov_b32 v30, 0 :: v_dual_mov_b32 v31, 0
	scratch_store_b32 off, v26, off offset:64 ; 4-byte Folded Spill
	s_and_saveexec_b32 s2, s14
	s_cbranch_execz .LBB38_6
; %bb.5:
	v_lshlrev_b32_e32 v12, 4, v20
	global_load_b128 v[24:27], v12, s[18:19]
	s_wait_loadcnt 0x0
	v_lshlrev_b32_e32 v31, 16, v24
	v_and_b32_e32 v30, 0xffff0000, v24
	v_lshlrev_b32_e32 v24, 16, v25
	v_and_b32_e32 v23, 0xffff0000, v25
	v_lshlrev_b32_e32 v19, 16, v26
	v_and_b32_e32 v18, 0xffff0000, v26
	v_lshlrev_b32_e32 v13, 16, v27
	v_and_b32_e32 v12, 0xffff0000, v27
.LBB38_6:
	s_or_b32 exec_lo, exec_lo, s2
	v_dual_mov_b32 v20, 0 :: v_dual_add_nc_u32 v27, s20, v20
	v_dual_mov_b32 v25, 0 :: v_dual_mov_b32 v26, 0
	v_dual_mov_b32 v32, 0 :: v_dual_mov_b32 v37, 0
	s_delay_alu instid0(VALU_DEP_3) | instskip(SKIP_1) | instid1(VALU_DEP_2)
	v_dual_mov_b32 v33, 0 :: v_dual_lshlrev_b32 v28, 3, v27
	v_dual_mov_b32 v38, 0 :: v_dual_lshlrev_b32 v29, 4, v27
	v_cmp_gt_u32_e64 s13, s17, v28
	scratch_store_b32 off, v29, off offset:60 ; 4-byte Folded Spill
	s_and_saveexec_b32 s2, s13
	s_cbranch_execz .LBB38_8
; %bb.7:
	v_lshlrev_b32_e32 v11, 4, v27
	global_load_b128 v[33:36], v11, s[18:19]
	s_wait_loadcnt 0x0
	v_lshlrev_b32_e32 v38, 16, v33
	v_and_b32_e32 v37, 0xffff0000, v33
	v_lshlrev_b32_e32 v33, 16, v34
	v_and_b32_e32 v32, 0xffff0000, v34
	v_lshlrev_b32_e32 v26, 16, v35
	v_and_b32_e32 v25, 0xffff0000, v35
	v_lshlrev_b32_e32 v20, 16, v36
	v_and_b32_e32 v11, 0xffff0000, v36
.LBB38_8:
	s_or_b32 exec_lo, exec_lo, s2
	v_dual_mov_b32 v27, 0 :: v_dual_add_nc_u32 v36, s20, v27
	v_mov_b32_e32 v34, 0
	v_dual_mov_b32 v28, 0 :: v_dual_mov_b32 v29, 0
	s_delay_alu instid0(VALU_DEP_3) | instskip(SKIP_2) | instid1(VALU_DEP_3)
	v_lshlrev_b32_e32 v41, 3, v36
	v_dual_mov_b32 v35, 0 :: v_dual_mov_b32 v40, 0
	v_dual_mov_b32 v39, 0 :: v_dual_lshlrev_b32 v42, 4, v36
	v_cmp_gt_u32_e64 s12, s17, v41
	v_dual_mov_b32 v46, 0 :: v_dual_mov_b32 v47, 0
	scratch_store_b32 off, v42, off offset:56 ; 4-byte Folded Spill
	s_and_saveexec_b32 s2, s12
	s_cbranch_execz .LBB38_10
; %bb.9:
	v_lshlrev_b32_e32 v28, 4, v36
	global_load_b128 v[40:43], v28, s[18:19]
	s_wait_loadcnt 0x0
	v_lshlrev_b32_e32 v47, 16, v40
	v_and_b32_e32 v46, 0xffff0000, v40
	v_lshlrev_b32_e32 v40, 16, v41
	v_and_b32_e32 v39, 0xffff0000, v41
	v_lshlrev_b32_e32 v35, 16, v42
	v_and_b32_e32 v34, 0xffff0000, v42
	v_lshlrev_b32_e32 v29, 16, v43
	v_and_b32_e32 v28, 0xffff0000, v43
.LBB38_10:
	s_or_b32 exec_lo, exec_lo, s2
	v_dual_mov_b32 v36, 0 :: v_dual_add_nc_u32 v43, s20, v36
	v_dual_mov_b32 v41, 0 :: v_dual_mov_b32 v42, 0
	v_dual_mov_b32 v48, 0 :: v_dual_mov_b32 v53, 0
	s_delay_alu instid0(VALU_DEP_3) | instskip(SKIP_1) | instid1(VALU_DEP_2)
	;; [unrolled: 50-line block ×4, first 2 shown]
	v_dual_mov_b32 v81, 0 :: v_dual_lshlrev_b32 v76, 3, v75
	v_dual_mov_b32 v86, 0 :: v_dual_lshlrev_b32 v77, 4, v75
	v_cmp_gt_u32_e64 s7, s17, v76
	scratch_store_b32 off, v77, off offset:36 ; 4-byte Folded Spill
	s_and_saveexec_b32 s2, s7
	s_cbranch_execz .LBB38_20
; %bb.19:
	v_lshlrev_b32_e32 v59, 4, v75
	global_load_b128 v[81:84], v59, s[18:19]
	s_wait_loadcnt 0x0
	v_lshlrev_b32_e32 v86, 16, v81
	v_and_b32_e32 v85, 0xffff0000, v81
	v_lshlrev_b32_e32 v81, 16, v82
	v_and_b32_e32 v80, 0xffff0000, v82
	;; [unrolled: 2-line block ×4, first 2 shown]
.LBB38_20:
	s_or_b32 exec_lo, exec_lo, s2
	v_dual_mov_b32 v75, 0 :: v_dual_add_nc_u32 v84, s20, v75
	v_mov_b32_e32 v82, 0
	v_dual_mov_b32 v76, 0 :: v_dual_mov_b32 v77, 0
	s_delay_alu instid0(VALU_DEP_3) | instskip(SKIP_2) | instid1(VALU_DEP_3)
	v_lshlrev_b32_e32 v89, 3, v84
	v_dual_mov_b32 v83, 0 :: v_dual_mov_b32 v88, 0
	v_dual_mov_b32 v87, 0 :: v_dual_lshlrev_b32 v90, 4, v84
	v_cmp_gt_u32_e64 s6, s17, v89
	v_dual_mov_b32 v94, 0 :: v_dual_mov_b32 v95, 0
	scratch_store_b32 off, v90, off offset:32 ; 4-byte Folded Spill
	s_and_saveexec_b32 s2, s6
	s_cbranch_execz .LBB38_22
; %bb.21:
	v_lshlrev_b32_e32 v76, 4, v84
	global_load_b128 v[88:91], v76, s[18:19]
	s_wait_loadcnt 0x0
	v_lshlrev_b32_e32 v95, 16, v88
	v_and_b32_e32 v94, 0xffff0000, v88
	v_lshlrev_b32_e32 v88, 16, v89
	v_and_b32_e32 v87, 0xffff0000, v89
	;; [unrolled: 2-line block ×4, first 2 shown]
.LBB38_22:
	s_or_b32 exec_lo, exec_lo, s2
	v_dual_mov_b32 v84, 0 :: v_dual_add_nc_u32 v91, s20, v84
	v_dual_mov_b32 v89, 0 :: v_dual_mov_b32 v90, 0
	s_delay_alu instid0(VALU_DEP_2)
	v_dual_mov_b32 v96, 0 :: v_dual_lshlrev_b32 v93, 4, v91
	v_dual_mov_b32 v97, 0 :: v_dual_lshlrev_b32 v92, 3, v91
	v_dual_mov_b32 v100, 0 :: v_dual_mov_b32 v101, 0
	scratch_store_b32 off, v93, off offset:28 ; 4-byte Folded Spill
	v_cmp_gt_u32_e64 s5, s17, v92
	s_and_saveexec_b32 s2, s5
	s_cbranch_execz .LBB38_24
; %bb.23:
	v_lshlrev_b32_e32 v75, 4, v91
	global_load_b128 v[102:105], v75, s[18:19]
	s_wait_loadcnt 0x0
	v_lshlrev_b32_e32 v101, 16, v102
	v_and_b32_e32 v100, 0xffff0000, v102
	v_lshlrev_b32_e32 v97, 16, v103
	v_and_b32_e32 v96, 0xffff0000, v103
	;; [unrolled: 2-line block ×4, first 2 shown]
.LBB38_24:
	s_or_b32 exec_lo, exec_lo, s2
	v_dual_mov_b32 v93, 0 :: v_dual_add_nc_u32 v102, s20, v91
	v_dual_mov_b32 v98, 0 :: v_dual_mov_b32 v91, 0
	s_delay_alu instid0(VALU_DEP_2) | instskip(SKIP_2) | instid1(VALU_DEP_3)
	v_dual_mov_b32 v92, 0 :: v_dual_lshlrev_b32 v105, 3, v102
	v_dual_mov_b32 v99, 0 :: v_dual_mov_b32 v104, 0
	v_dual_mov_b32 v103, 0 :: v_dual_lshlrev_b32 v106, 4, v102
	v_cmp_gt_u32_e64 s4, s17, v105
	v_dual_mov_b32 v107, 0 :: v_dual_mov_b32 v108, 0
	scratch_store_b32 off, v106, off offset:24 ; 4-byte Folded Spill
	s_and_saveexec_b32 s2, s4
	s_cbranch_execz .LBB38_26
; %bb.25:
	v_lshlrev_b32_e32 v91, 4, v102
	global_load_b128 v[109:112], v91, s[18:19]
	s_wait_loadcnt 0x0
	v_lshlrev_b32_e32 v108, 16, v109
	v_and_b32_e32 v107, 0xffff0000, v109
	v_lshlrev_b32_e32 v104, 16, v110
	v_and_b32_e32 v103, 0xffff0000, v110
	;; [unrolled: 2-line block ×4, first 2 shown]
.LBB38_26:
	s_or_b32 exec_lo, exec_lo, s2
	v_dual_mov_b32 v105, 0 :: v_dual_add_nc_u32 v110, s20, v102
	v_mov_b32_e32 v102, 0
	v_dual_mov_b32 v106, 0 :: v_dual_mov_b32 v113, 0
	s_delay_alu instid0(VALU_DEP_3) | instskip(SKIP_1) | instid1(VALU_DEP_2)
	v_dual_mov_b32 v112, 0 :: v_dual_lshlrev_b32 v109, 3, v110
	v_dual_mov_b32 v117, 0 :: v_dual_mov_b32 v116, 0
	v_cmp_gt_u32_e64 s3, s17, v109
	s_and_saveexec_b32 s2, s3
	s_cbranch_execz .LBB38_28
; %bb.27:
	v_mov_b32_e32 v111, 0
	s_delay_alu instid0(VALU_DEP_1) | instskip(NEXT) | instid1(VALU_DEP_1)
	v_lshlrev_b64_e32 v[105:106], 4, v[110:111]
	v_add_co_u32 v105, vcc_lo, s18, v105
	s_delay_alu instid0(VALU_DEP_1)
	v_add_co_ci_u32_e64 v106, null, s19, v106, vcc_lo
	global_load_b128 v[118:121], v[105:106], off
	s_wait_loadcnt 0x0
	v_lshlrev_b32_e32 v117, 16, v118
	v_and_b32_e32 v116, 0xffff0000, v118
	v_lshlrev_b32_e32 v113, 16, v119
	v_and_b32_e32 v112, 0xffff0000, v119
	v_lshlrev_b32_e32 v106, 16, v120
	v_and_b32_e32 v105, 0xffff0000, v120
	v_lshlrev_b32_e32 v102, 16, v121
	v_and_b32_e32 v93, 0xffff0000, v121
.LBB38_28:
	s_or_b32 exec_lo, exec_lo, s2
	v_mov_b32_e32 v109, v110
	v_dual_mov_b32 v114, 0 :: v_dual_add_nc_u32 v121, s20, v110
	v_dual_mov_b32 v111, 0 :: v_dual_mov_b32 v120, 0
	scratch_store_b64 off, v[109:110], off offset:16 ; 8-byte Folded Spill
	v_dual_mov_b32 v109, 0 :: v_dual_lshlrev_b32 v118, 3, v121
	v_dual_mov_b32 v110, 0 :: v_dual_mov_b32 v115, 0
	v_dual_mov_b32 v124, 0 :: v_dual_mov_b32 v119, 0
	v_mov_b32_e32 v123, 0
	s_delay_alu instid0(VALU_DEP_4)
	v_cmp_gt_u32_e64 s2, s17, v118
	s_and_saveexec_b32 s21, s2
	s_cbranch_execz .LBB38_30
; %bb.29:
	v_mov_b32_e32 v122, 0
	s_delay_alu instid0(VALU_DEP_1) | instskip(NEXT) | instid1(VALU_DEP_1)
	v_lshlrev_b64_e32 v[110:111], 4, v[121:122]
	v_add_co_u32 v110, vcc_lo, s18, v110
	s_wait_alu 0xfffd
	s_delay_alu instid0(VALU_DEP_2)
	v_add_co_ci_u32_e64 v111, null, s19, v111, vcc_lo
	global_load_b128 v[125:128], v[110:111], off
	s_wait_loadcnt 0x0
	v_lshlrev_b32_e32 v124, 16, v125
	v_and_b32_e32 v123, 0xffff0000, v125
	v_lshlrev_b32_e32 v120, 16, v126
	v_and_b32_e32 v119, 0xffff0000, v126
	;; [unrolled: 2-line block ×4, first 2 shown]
.LBB38_30:
	s_wait_alu 0xfffe
	s_or_b32 exec_lo, exec_lo, s21
	v_dual_mov_b32 v118, v121 :: v_dual_add_nc_u32 v125, s20, v121
	v_dual_mov_b32 v126, 0 :: v_dual_mov_b32 v121, 0
	s_delay_alu instid0(VALU_DEP_2)
	v_dual_mov_b32 v127, 0 :: v_dual_lshlrev_b32 v128, 3, v125
	v_dual_mov_b32 v122, v125 :: v_dual_mov_b32 v125, 0
	scratch_store_b64 off, v[118:119], off offset:8 ; 8-byte Folded Spill
	v_mov_b32_e32 v118, 0
	v_cmp_gt_u32_e32 vcc_lo, s17, v128
	scratch_store_b64 off, v[122:123], off  ; 8-byte Folded Spill
	v_mov_b32_e32 v122, 0
	v_mov_b32_e32 v128, 0
	s_and_saveexec_b32 s20, vcc_lo
	s_cbranch_execz .LBB38_32
; %bb.31:
	scratch_load_b64 v[121:122], off, off th:TH_LOAD_LU ; 8-byte Folded Reload
	s_wait_loadcnt 0x0
	v_dual_mov_b32 v122, 0 :: v_dual_mov_b32 v109, v121
	s_delay_alu instid0(VALU_DEP_1)
	v_lshlrev_b64_e32 v[121:122], 4, v[121:122]
	scratch_store_b64 off, v[109:110], off  ; 8-byte Folded Spill
	v_add_co_u32 v121, s17, s18, v121
	s_wait_alu 0xf1ff
	v_add_co_ci_u32_e64 v122, null, s19, v122, s17
	global_load_b128 v[129:132], v[121:122], off
	s_wait_loadcnt 0x0
	v_lshlrev_b32_e32 v128, 16, v129
	v_and_b32_e32 v127, 0xffff0000, v129
	v_lshlrev_b32_e32 v126, 16, v130
	v_and_b32_e32 v125, 0xffff0000, v130
	;; [unrolled: 2-line block ×4, first 2 shown]
.LBB38_32:
	s_wait_alu 0xfffe
	s_or_b32 exec_lo, exec_lo, s20
	v_add_f32_e32 v129, v15, v14
	v_dual_sub_f32 v14, v15, v14 :: v_dual_add_f32 v15, v22, v21
	v_dual_sub_f32 v21, v22, v21 :: v_dual_add_f32 v22, v31, v30
	;; [unrolled: 1-line block ×4, first 2 shown]
	v_sub_f32_e32 v46, v47, v46
	v_add_f32_e32 v47, v53, v54
	v_sub_f32_e32 v53, v54, v53
	v_add_f32_e32 v54, v62, v63
	;; [unrolled: 2-line block ×6, first 2 shown]
	v_dual_sub_f32 v94, v95, v94 :: v_dual_add_f32 v95, v100, v101
	v_sub_f32_e32 v100, v101, v100
	v_add_f32_e32 v101, v107, v108
	v_sub_f32_e32 v107, v108, v107
	v_add_f32_e32 v108, v116, v117
	;; [unrolled: 2-line block ×3, first 2 shown]
	v_dual_sub_f32 v123, v124, v123 :: v_dual_add_f32 v124, v127, v128
	v_sub_f32_e32 v127, v128, v127
	v_add_f32_e32 v128, v8, v7
	v_dual_sub_f32 v7, v8, v7 :: v_dual_add_f32 v8, v17, v16
	v_dual_sub_f32 v16, v17, v16 :: v_dual_add_f32 v17, v24, v23
	;; [unrolled: 1-line block ×9, first 2 shown]
	v_sub_f32_e32 v80, v81, v80
	v_add_f32_e32 v81, v87, v88
	v_sub_f32_e32 v87, v88, v87
	v_add_f32_e32 v88, v96, v97
	;; [unrolled: 2-line block ×5, first 2 shown]
	v_dual_sub_f32 v119, v120, v119 :: v_dual_add_f32 v120, v125, v126
	v_dual_sub_f32 v125, v126, v125 :: v_dual_add_f32 v126, v5, v4
	;; [unrolled: 1-line block ×16, first 2 shown]
	v_sub_f32_e32 v114, v115, v114
	v_add_f32_e32 v115, v121, v122
	v_dual_sub_f32 v121, v122, v121 :: v_dual_add_f32 v122, v3, v2
	v_dual_sub_f32 v2, v3, v2 :: v_dual_add_f32 v3, v6, v1
	;; [unrolled: 1-line block ×12, first 2 shown]
	v_sub_f32_e32 v75, v84, v75
	v_add_f32_e32 v84, v92, v91
	v_dual_sub_f32 v91, v92, v91 :: v_dual_add_f32 v92, v102, v93
	v_dual_sub_f32 v93, v102, v93 :: v_dual_add_f32 v102, v111, v110
	;; [unrolled: 1-line block ×3, first 2 shown]
	v_dual_sub_f32 v109, v118, v109 :: v_dual_sub_f32 v130, v15, v8
	v_add_f32_e32 v118, v128, v129
	v_dual_sub_f32 v128, v129, v128 :: v_dual_add_f32 v129, v8, v15
	v_add_f32_e32 v8, v17, v22
	v_dual_sub_f32 v22, v22, v17 :: v_dual_add_f32 v15, v24, v31
	v_dual_sub_f32 v24, v31, v24 :: v_dual_sub_f32 v31, v38, v33
	v_add_f32_e32 v17, v33, v38
	v_dual_add_f32 v33, v40, v47 :: v_dual_sub_f32 v38, v47, v40
	v_dual_add_f32 v40, v49, v54 :: v_dual_sub_f32 v47, v54, v49
	;; [unrolled: 1-line block ×5, first 2 shown]
	v_dual_add_f32 v72, v81, v86 :: v_dual_add_f32 v79, v88, v95
	v_sub_f32_e32 v86, v86, v81
	v_dual_sub_f32 v88, v95, v88 :: v_dual_add_f32 v81, v97, v101
	v_sub_f32_e32 v95, v101, v97
	v_add_f32_e32 v97, v104, v108
	v_dual_sub_f32 v101, v108, v104 :: v_dual_add_f32 v104, v113, v117
	v_dual_sub_f32 v108, v117, v113 :: v_dual_add_f32 v113, v120, v124
	v_dual_sub_f32 v117, v124, v120 :: v_dual_sub_f32 v124, v14, v7
	v_add_f32_e32 v120, v14, v7
	v_add_f32_e32 v14, v21, v16
	v_dual_sub_f32 v21, v21, v16 :: v_dual_add_f32 v16, v30, v23
	v_dual_sub_f32 v23, v30, v23 :: v_dual_add_f32 v30, v37, v32
	;; [unrolled: 1-line block ×7, first 2 shown]
	v_sub_f32_e32 v71, v78, v71
	v_add_f32_e32 v131, v85, v80
	v_dual_sub_f32 v132, v85, v80 :: v_dual_add_f32 v85, v94, v87
	v_dual_sub_f32 v87, v94, v87 :: v_dual_add_f32 v94, v100, v96
	v_sub_f32_e32 v96, v100, v96
	v_add_f32_e32 v100, v107, v103
	v_sub_f32_e32 v103, v107, v103
	v_add_f32_e32 v107, v116, v112
	;; [unrolled: 2-line block ×4, first 2 shown]
	v_sub_f32_e32 v125, v127, v125
	v_dual_add_f32 v7, v122, v126 :: v_dual_add_f32 v78, v3, v5
	v_sub_f32_e32 v122, v126, v122
	v_dual_sub_f32 v126, v5, v3 :: v_dual_add_f32 v3, v6, v10
	v_dual_sub_f32 v6, v10, v6 :: v_dual_add_f32 v5, v13, v19
	;; [unrolled: 1-line block ×4, first 2 shown]
	v_dual_add_f32 v13, v29, v35 :: v_dual_sub_f32 v36, v42, v36
	v_dual_sub_f32 v35, v35, v29 :: v_dual_add_f32 v26, v45, v51
	v_dual_sub_f32 v42, v51, v45 :: v_dual_add_f32 v29, v52, v58
	v_dual_sub_f32 v45, v58, v52 :: v_dual_sub_f32 v52, v67, v61
	v_dual_add_f32 v51, v61, v67 :: v_dual_add_f32 v58, v68, v74
	v_sub_f32_e32 v61, v74, v68
	v_dual_add_f32 v67, v77, v83 :: v_dual_sub_f32 v68, v83, v77
	v_dual_add_f32 v83, v84, v90 :: v_dual_sub_f32 v90, v90, v84
	v_add_f32_e32 v84, v92, v99
	v_dual_sub_f32 v92, v99, v92 :: v_dual_add_f32 v99, v102, v106
	v_sub_f32_e32 v102, v106, v102
	v_add_f32_e32 v106, v111, v115
	v_sub_f32_e32 v111, v115, v111
	v_add_f32_e32 v115, v4, v2
	v_dual_sub_f32 v133, v4, v2 :: v_dual_sub_f32 v134, v9, v1
	v_dual_add_f32 v4, v9, v1 :: v_dual_add_f32 v1, v18, v12
	v_sub_f32_e32 v135, v18, v12
	v_add_f32_e32 v9, v25, v11
	v_sub_f32_e32 v25, v25, v11
	v_add_f32_e32 v11, v34, v28
	;; [unrolled: 2-line block ×3, first 2 shown]
	v_dual_sub_f32 v27, v41, v27 :: v_dual_add_f32 v34, v50, v44
	v_dual_sub_f32 v41, v50, v44 :: v_dual_add_f32 v44, v57, v43
	;; [unrolled: 1-line block ×7, first 2 shown]
	v_dual_add_f32 v89, v98, v91 :: v_dual_sub_f32 v140, v15, v5
	v_dual_sub_f32 v91, v98, v91 :: v_dual_sub_f32 v142, v17, v10
	v_add_f32_e32 v98, v105, v93
	v_sub_f32_e32 v93, v105, v93
	v_dual_add_f32 v105, v114, v110 :: v_dual_sub_f32 v138, v8, v3
	v_sub_f32_e32 v110, v114, v110
	v_add_f32_e32 v114, v121, v109
	v_dual_sub_f32 v109, v121, v109 :: v_dual_sub_f32 v80, v72, v58
	v_dual_sub_f32 v129, v129, v78 :: v_dual_add_f32 v148, v26, v49
	v_dual_add_f32 v137, v3, v8 :: v_dual_sub_f32 v78, v65, v51
	v_dual_add_f32 v139, v5, v15 :: v_dual_add_f32 v74, v51, v65
	v_dual_add_f32 v141, v10, v17 :: v_dual_add_f32 v150, v29, v56
	v_dual_sub_f32 v153, v56, v29 :: v_dual_sub_f32 v12, v97, v84
	v_dual_add_f32 v77, v58, v72 :: v_dual_add_f32 v158, v44, v62
	v_dual_sub_f32 v29, v79, v67 :: v_dual_add_f32 v58, v1, v16
	v_sub_f32_e32 v65, v16, v1
	v_mbcnt_lo_u32_b32 v1, -1, 0
	v_dual_add_f32 v121, v7, v118 :: v_dual_sub_f32 v144, v33, v13
	v_dual_sub_f32 v118, v118, v7 :: v_dual_add_f32 v143, v13, v33
	v_add_f32_e32 v8, v99, v104
	v_add_f32_e32 v145, v20, v40
	v_dual_sub_f32 v147, v40, v20 :: v_dual_sub_f32 v2, v113, v106
	v_dual_sub_f32 v149, v49, v26 :: v_dual_add_f32 v40, v115, v120
	v_dual_add_f32 v33, v67, v79 :: v_dual_sub_f32 v56, v14, v4
	v_dual_add_f32 v20, v83, v81 :: v_dual_sub_f32 v17, v81, v83
	v_sub_f32_e32 v72, v30, v9
	v_add_f32_e32 v13, v84, v97
	v_dual_sub_f32 v7, v104, v99 :: v_dual_add_f32 v154, v34, v53
	v_dual_add_f32 v3, v106, v113 :: v_dual_add_f32 v166, v60, v131
	v_dual_sub_f32 v49, v120, v115 :: v_dual_add_f32 v162, v50, v69
	v_dual_add_f32 v51, v4, v14 :: v_dual_add_f32 v82, v66, v85
	v_add_f32_e32 v97, v11, v32
	v_dual_sub_f32 v99, v32, v11 :: v_dual_add_f32 v106, v18, v46
	v_dual_sub_f32 v115, v46, v18 :: v_dual_sub_f32 v10, v116, v105
	v_dual_sub_f32 v161, v62, v44 :: v_dual_sub_f32 v4, v123, v114
	v_dual_sub_f32 v79, v131, v60 :: v_dual_add_f32 v44, v128, v122
	v_dual_add_f32 v83, v76, v94 :: v_dual_add_f32 v18, v98, v107
	v_dual_sub_f32 v15, v107, v98 :: v_dual_sub_f32 v170, v70, v52
	v_dual_add_f32 v11, v105, v116 :: v_dual_sub_f32 v46, v128, v122
	v_dual_add_f32 v5, v114, v123 :: v_dual_add_f32 v122, v47, v36
	v_dual_add_f32 v60, v22, v6 :: v_dual_sub_f32 v123, v47, v36
	v_add_f32_e32 v107, v38, v35
	v_dual_sub_f32 v114, v38, v35 :: v_dual_sub_f32 v35, v124, v133
	v_add_f32_e32 v36, v21, v134
	v_sub_f32_e32 v38, v21, v134
	v_xor_b32_e32 v21, 1, v1
	s_load_b32 s20, s[0:1], 0x20
	v_sub_f32_e32 v157, v53, v34
	v_sub_f32_e32 v165, v69, v50
	v_dual_sub_f32 v81, v85, v66 :: v_dual_sub_f32 v98, v31, v127
	v_cmp_gt_i32_e64 s0, 32, v21
	v_sub_f32_e32 v34, v94, v76
	v_dual_add_f32 v50, v130, v126 :: v_dual_sub_f32 v69, v24, v19
	v_dual_sub_f32 v53, v130, v126 :: v_dual_add_f32 v128, v63, v45
	s_delay_alu instid0(VALU_DEP_4)
	v_cndmask_b32_e64 v21, v1, v21, s0
	v_add_f32_e32 v76, v31, v127
	v_add_f32_e32 v126, v54, v42
	v_dual_sub_f32 v127, v54, v42 :: v_dual_add_f32 v84, v88, v68
	v_dual_add_f32 v169, v70, v52 :: v_dual_add_f32 v16, v108, v102
	v_dual_add_f32 v42, v23, v135 :: v_dual_add_f32 v47, v37, v25
	v_sub_f32_e32 v52, v37, v25
	v_dual_add_f32 v54, v39, v28 :: v_dual_lshlrev_b32 v37, 2, v21
	v_sub_f32_e32 v62, v22, v6
	v_dual_add_f32 v70, v55, v41 :: v_dual_and_b32 v21, 1, v0
	v_add_f32_e32 v66, v24, v19
	ds_bpermute_b32 v22, v37, v121
	v_sub_f32_e32 v130, v63, v45
	v_dual_sub_f32 v31, v95, v90 :: v_dual_add_f32 v24, v124, v133
	v_cmp_eq_u32_e64 s1, 0, v21
	v_dual_sub_f32 v14, v108, v102 :: v_dual_sub_f32 v45, v23, v135
	v_dual_add_f32 v67, v9, v30 :: v_dual_sub_f32 v26, v100, v89
	s_wait_alu 0xf1ff
	s_delay_alu instid0(VALU_DEP_3)
	v_cndmask_b32_e64 v23, -v121, v121, s1
	v_dual_add_f32 v30, v89, v100 :: v_dual_add_f32 v173, v86, v61
	v_dual_sub_f32 v85, v86, v61 :: v_dual_add_f32 v32, v101, v92
	v_dual_sub_f32 v86, v88, v68 :: v_dual_add_f32 v89, v95, v90
	v_dual_sub_f32 v6, v117, v111 :: v_dual_sub_f32 v61, v39, v28
	v_add_f32_e32 v63, v48, v27
	v_sub_f32_e32 v68, v48, v27
	v_dual_add_f32 v90, v64, v43 :: v_dual_sub_f32 v133, v71, v57
	v_dual_sub_f32 v102, v64, v43 :: v_dual_add_f32 v135, v87, v73
	ds_bpermute_b32 v25, v37, v40
	ds_bpermute_b32 v27, v37, v44
	;; [unrolled: 1-line block ×4, first 2 shown]
	v_cndmask_b32_e64 v24, -v24, v24, s1
	s_wait_dscnt 0x4
	v_add_f32_e32 v22, v23, v22
	v_cndmask_b32_e64 v23, -v40, v40, s1
	v_cndmask_b32_e64 v40, -v44, v44, s1
	v_sub_f32_e32 v88, v55, v41
	ds_bpermute_b32 v41, v37, v118
	v_add_f32_e32 v9, v117, v111
	v_dual_add_f32 v111, v71, v57 :: v_dual_add_f32 v134, v132, v59
	v_dual_sub_f32 v87, v87, v73 :: v_dual_sub_f32 v132, v132, v59
	v_cndmask_b32_e64 v44, -v118, v118, s1
	v_cndmask_b32_e64 v48, -v49, v49, s1
	ds_bpermute_b32 v49, v37, v46
	ds_bpermute_b32 v55, v37, v35
	;; [unrolled: 1-line block ×5, first 2 shown]
	v_dual_add_f32 v177, v103, v91 :: v_dual_sub_f32 v94, v112, v93
	v_sub_f32_e32 v103, v103, v91
	s_wait_dscnt 0x6
	v_dual_add_f32 v100, v23, v25 :: v_dual_add_f32 v25, v48, v43
	v_add_f32_e32 v23, v24, v28
	ds_bpermute_b32 v43, v37, v36
	s_wait_dscnt 0x6
	v_add_f32_e32 v24, v44, v41
	v_cndmask_b32_e64 v41, -v50, v50, s1
	ds_bpermute_b32 v44, v37, v129
	ds_bpermute_b32 v48, v37, v53
	;; [unrolled: 1-line block ×3, first 2 shown]
	v_sub_f32_e32 v19, v101, v92
	v_add_f32_e32 v101, v40, v27
	v_cndmask_b32_e64 v27, -v46, v46, s1
	v_cndmask_b32_e64 v28, -v35, v35, s1
	;; [unrolled: 1-line block ×4, first 2 shown]
	ds_bpermute_b32 v46, v37, v56
	s_wait_dscnt 0x8
	v_dual_add_f32 v104, v27, v49 :: v_dual_add_f32 v105, v28, v55
	s_wait_dscnt 0x6
	v_dual_add_f32 v27, v35, v57 :: v_dual_add_f32 v28, v40, v59
	v_cndmask_b32_e64 v36, -v36, v36, s1
	s_wait_dscnt 0x5
	v_add_f32_e32 v35, v41, v64
	v_cndmask_b32_e64 v40, -v129, v129, s1
	v_cndmask_b32_e64 v41, -v56, v56, s1
	;; [unrolled: 1-line block ×4, first 2 shown]
	ds_bpermute_b32 v53, v37, v137
	ds_bpermute_b32 v55, v37, v58
	;; [unrolled: 1-line block ×5, first 2 shown]
	v_dual_add_f32 v174, v96, v75 :: v_dual_add_f32 v39, v125, v109
	v_dual_sub_f32 v96, v96, v75 :: v_dual_sub_f32 v21, v125, v109
	s_wait_dscnt 0x9
	v_add_f32_e32 v108, v36, v43
	s_wait_dscnt 0x5
	v_dual_add_f32 v109, v40, v44 :: v_dual_add_f32 v36, v41, v46
	v_cndmask_b32_e64 v43, -v58, v58, s1
	v_add_f32_e32 v38, v49, v48
	v_cndmask_b32_e64 v44, -v60, v60, s1
	v_add_f32_e32 v40, v51, v50
	ds_bpermute_b32 v48, v37, v65
	ds_bpermute_b32 v49, v37, v62
	;; [unrolled: 1-line block ×5, first 2 shown]
	v_cndmask_b32_e64 v41, -v137, v137, s1
	v_cndmask_b32_e64 v42, -v42, v42, s1
	;; [unrolled: 1-line block ×3, first 2 shown]
	v_dual_add_f32 v95, v112, v93 :: v_dual_sub_f32 v92, v119, v110
	s_wait_dscnt 0x8
	v_dual_add_f32 v112, v41, v53 :: v_dual_add_f32 v113, v43, v55
	s_wait_dscnt 0x7
	v_add_f32_e32 v41, v44, v56
	s_wait_dscnt 0x5
	v_add_f32_e32 v43, v46, v59
	v_cndmask_b32_e64 v44, -v65, v65, s1
	v_cndmask_b32_e64 v46, -v62, v62, s1
	;; [unrolled: 1-line block ×4, first 2 shown]
	v_add_f32_e32 v42, v42, v57
	v_cndmask_b32_e64 v55, -v67, v67, s1
	ds_bpermute_b32 v56, v37, v66
	ds_bpermute_b32 v57, v37, v47
	;; [unrolled: 1-line block ×5, first 2 shown]
	s_wait_dscnt 0x8
	v_dual_add_f32 v116, v44, v48 :: v_dual_add_f32 v117, v46, v49
	v_cndmask_b32_e64 v47, -v47, v47, s1
	s_wait_dscnt 0x7
	v_add_f32_e32 v44, v45, v50
	s_wait_dscnt 0x6
	v_add_f32_e32 v45, v53, v51
	v_cndmask_b32_e64 v49, -v140, v140, s1
	s_wait_dscnt 0x5
	v_add_f32_e32 v46, v55, v58
	ds_bpermute_b32 v53, v37, v52
	ds_bpermute_b32 v55, v37, v141
	;; [unrolled: 1-line block ×5, first 2 shown]
	v_cndmask_b32_e64 v48, -v66, v66, s1
	v_cndmask_b32_e64 v50, -v72, v72, s1
	;; [unrolled: 1-line block ×4, first 2 shown]
	s_wait_dscnt 0x8
	v_dual_add_f32 v121, v47, v57 :: v_dual_add_f32 v120, v48, v56
	s_wait_dscnt 0x7
	v_add_f32_e32 v47, v49, v59
	s_wait_dscnt 0x5
	v_add_f32_e32 v49, v51, v62
	v_cndmask_b32_e64 v51, -v141, v141, s1
	v_add_f32_e32 v48, v50, v60
	v_cndmask_b32_e64 v50, -v52, v52, s1
	v_cndmask_b32_e64 v52, -v97, v97, s1
	;; [unrolled: 1-line block ×3, first 2 shown]
	ds_bpermute_b32 v57, v37, v142
	ds_bpermute_b32 v59, v37, v99
	;; [unrolled: 1-line block ×5, first 2 shown]
	s_wait_dscnt 0x8
	v_dual_add_f32 v124, v50, v53 :: v_dual_add_f32 v125, v51, v55
	s_wait_dscnt 0x6
	v_add_f32_e32 v51, v56, v64
	v_cndmask_b32_e64 v53, -v142, v142, s1
	v_add_f32_e32 v50, v52, v58
	v_cndmask_b32_e64 v55, -v98, v98, s1
	s_wait_dscnt 0x5
	v_add_f32_e32 v52, v54, v65
	v_cndmask_b32_e64 v56, -v61, v61, s1
	ds_bpermute_b32 v61, v37, v106
	ds_bpermute_b32 v64, v37, v107
	;; [unrolled: 1-line block ×5, first 2 shown]
	v_cndmask_b32_e64 v54, -v99, v99, s1
	v_cndmask_b32_e64 v58, -v143, v143, s1
	s_wait_dscnt 0x9
	v_add_f32_e32 v129, v53, v57
	v_cndmask_b32_e64 v57, -v107, v107, s1
	s_wait_dscnt 0x7
	v_add_f32_e32 v53, v55, v60
	s_wait_dscnt 0x6
	v_dual_add_f32 v131, v54, v59 :: v_dual_add_f32 v54, v56, v62
	s_wait_dscnt 0x5
	v_add_f32_e32 v55, v58, v66
	v_cndmask_b32_e64 v56, -v106, v106, s1
	v_cndmask_b32_e64 v58, -v63, v63, s1
	;; [unrolled: 1-line block ×4, first 2 shown]
	ds_bpermute_b32 v62, v37, v114
	ds_bpermute_b32 v63, v37, v68
	;; [unrolled: 1-line block ×5, first 2 shown]
	s_wait_dscnt 0x8
	v_dual_add_f32 v151, v56, v61 :: v_dual_add_f32 v152, v57, v64
	s_wait_dscnt 0x6
	v_dual_add_f32 v56, v58, v65 :: v_dual_add_f32 v57, v59, v67
	v_cndmask_b32_e64 v59, -v114, v114, s1
	s_wait_dscnt 0x5
	v_add_f32_e32 v58, v60, v69
	v_cndmask_b32_e64 v60, -v68, v68, s1
	ds_bpermute_b32 v67, v37, v70
	ds_bpermute_b32 v68, v37, v147
	ds_bpermute_b32 v69, v37, v157
	ds_bpermute_b32 v73, v37, v123
	ds_bpermute_b32 v75, v37, v88
	v_cndmask_b32_e64 v61, -v145, v145, s1
	v_cndmask_b32_e64 v64, -v154, v154, s1
	;; [unrolled: 1-line block ×3, first 2 shown]
	s_wait_dscnt 0x8
	v_dual_add_f32 v155, v59, v62 :: v_dual_add_f32 v156, v60, v63
	s_wait_dscnt 0x6
	v_dual_add_f32 v59, v61, v66 :: v_dual_add_f32 v60, v64, v71
	s_wait_dscnt 0x5
	v_add_f32_e32 v61, v65, v72
	v_cndmask_b32_e64 v62, -v70, v70, s1
	v_cndmask_b32_e64 v63, -v147, v147, s1
	;; [unrolled: 1-line block ×5, first 2 shown]
	ds_bpermute_b32 v70, v37, v148
	ds_bpermute_b32 v71, v37, v158
	;; [unrolled: 1-line block ×5, first 2 shown]
	s_wait_dscnt 0x7
	v_dual_add_f32 v159, v62, v67 :: v_dual_add_f32 v62, v64, v69
	s_wait_dscnt 0x6
	v_dual_add_f32 v160, v63, v68 :: v_dual_add_f32 v63, v65, v73
	s_wait_dscnt 0x5
	v_add_f32_e32 v64, v66, v75
	v_cndmask_b32_e64 v68, -v90, v90, s1
	ds_bpermute_b32 v73, v37, v161
	ds_bpermute_b32 v75, v37, v127
	;; [unrolled: 1-line block ×5, first 2 shown]
	v_cndmask_b32_e64 v65, -v148, v148, s1
	v_cndmask_b32_e64 v66, -v158, v158, s1
	;; [unrolled: 1-line block ×4, first 2 shown]
	ds_bpermute_b32 v99, v37, v165
	s_wait_dscnt 0x9
	v_dual_add_f32 v163, v65, v70 :: v_dual_add_f32 v164, v66, v71
	s_wait_dscnt 0x8
	v_add_f32_e32 v65, v67, v72
	v_cndmask_b32_e64 v70, -v102, v102, s1
	s_wait_dscnt 0x6
	v_add_f32_e32 v67, v69, v88
	v_cndmask_b32_e64 v69, -v127, v127, s1
	v_cndmask_b32_e64 v71, -v150, v150, s1
	v_add_f32_e32 v66, v68, v76
	v_cndmask_b32_e64 v68, -v161, v161, s1
	v_cndmask_b32_e64 v72, -v162, v162, s1
	ds_bpermute_b32 v88, v37, v111
	ds_bpermute_b32 v76, v37, v128
	;; [unrolled: 1-line block ×4, first 2 shown]
	s_wait_dscnt 0x8
	v_add_f32_e32 v168, v69, v75
	s_wait_dscnt 0x6
	v_add_f32_e32 v69, v71, v91
	v_cndmask_b32_e64 v71, -v128, v128, s1
	v_cndmask_b32_e64 v75, -v165, v165, s1
	v_dual_add_f32 v167, v68, v73 :: v_dual_add_f32 v68, v70, v90
	s_wait_dscnt 0x5
	v_add_f32_e32 v70, v72, v97
	ds_bpermute_b32 v91, v37, v133
	ds_bpermute_b32 v97, v37, v74
	;; [unrolled: 1-line block ×4, first 2 shown]
	v_cndmask_b32_e64 v72, -v111, v111, s1
	v_add_f32_e32 v93, v119, v110
	v_cndmask_b32_e64 v73, -v153, v153, s1
	v_cndmask_b32_e64 v90, -v130, v130, s1
	ds_bpermute_b32 v110, v37, v134
	s_wait_dscnt 0x8
	v_add_f32_e32 v172, v72, v88
	v_add_f32_e32 v72, v75, v99
	v_cndmask_b32_e64 v75, -v133, v133, s1
	v_cndmask_b32_e64 v74, -v74, v74, s1
	s_wait_dscnt 0x7
	v_add_f32_e32 v171, v71, v76
	s_wait_dscnt 0x6
	v_add_f32_e32 v71, v73, v98
	v_cndmask_b32_e64 v76, -v166, v166, s1
	v_cndmask_b32_e64 v88, -v169, v169, s1
	ds_bpermute_b32 v98, v37, v78
	ds_bpermute_b32 v99, v37, v79
	;; [unrolled: 1-line block ×4, first 2 shown]
	s_wait_dscnt 0x7
	v_dual_add_f32 v175, v75, v91 :: v_dual_add_f32 v176, v74, v97
	v_cndmask_b32_e64 v79, -v79, v79, s1
	v_add_f32_e32 v73, v90, v102
	ds_bpermute_b32 v102, v37, v170
	ds_bpermute_b32 v97, v37, v82
	v_cndmask_b32_e64 v90, -v134, v134, s1
	s_wait_dscnt 0x7
	v_add_f32_e32 v75, v88, v107
	ds_bpermute_b32 v107, v37, v135
	v_cndmask_b32_e64 v82, -v82, v82, s1
	v_add_f32_e32 v74, v76, v106
	ds_bpermute_b32 v106, v37, v173
	s_wait_dscnt 0x8
	v_add_f32_e32 v76, v90, v110
	v_cndmask_b32_e64 v78, -v78, v78, s1
	v_cndmask_b32_e64 v88, -v170, v170, s1
	;; [unrolled: 1-line block ×4, first 2 shown]
	ds_bpermute_b32 v110, v37, v80
	s_wait_dscnt 0x7
	v_add_f32_e32 v180, v79, v99
	ds_bpermute_b32 v99, v37, v85
	ds_bpermute_b32 v115, v37, v81
	;; [unrolled: 1-line block ×3, first 2 shown]
	v_cndmask_b32_e64 v85, -v85, v85, s1
	s_wait_storecnt_dscnt 0x0
	v_add_f32_e32 v77, v88, v102
	v_cndmask_b32_e64 v88, -v173, v173, s1
	ds_bpermute_b32 v102, v37, v87
	v_add_f32_e32 v183, v82, v97
	ds_bpermute_b32 v97, v37, v29
	v_cndmask_b32_e64 v29, -v29, v29, s1
	v_add_f32_e32 v179, v78, v98
	v_add_f32_e32 v78, v90, v111
	v_cndmask_b32_e64 v90, -v135, v135, s1
	v_add_f32_e32 v79, v91, v114
	ds_bpermute_b32 v111, v37, v33
	ds_bpermute_b32 v114, v37, v83
	v_cndmask_b32_e64 v91, -v80, v80, s1
	v_add_f32_e32 v184, v88, v106
	v_add_f32_e32 v80, v90, v107
	ds_bpermute_b32 v106, v37, v86
	ds_bpermute_b32 v107, v37, v96
	v_cndmask_b32_e64 v87, -v87, v87, s1
	v_cndmask_b32_e64 v33, -v33, v33, s1
	;; [unrolled: 1-line block ×4, first 2 shown]
	v_add_f32_e32 v81, v91, v110
	v_cndmask_b32_e64 v90, -v84, v84, s1
	ds_bpermute_b32 v91, v37, v174
	s_wait_dscnt 0x6
	v_dual_add_f32 v187, v85, v99 :: v_dual_add_f32 v188, v87, v102
	v_cndmask_b32_e64 v87, -v86, v86, s1
	ds_bpermute_b32 v99, v37, v89
	v_add_f32_e32 v82, v98, v115
	ds_bpermute_b32 v98, v37, v34
	s_wait_dscnt 0x6
	v_add_f32_e32 v83, v33, v111
	v_cndmask_b32_e64 v33, -v174, v174, s1
	s_wait_dscnt 0x5
	v_add_f32_e32 v84, v88, v114
	v_cndmask_b32_e64 v88, -v96, v96, s1
	v_add_f32_e32 v85, v90, v118
	ds_bpermute_b32 v90, v37, v20
	ds_bpermute_b32 v96, v37, v30
	v_add_f32_e32 v192, v29, v97
	s_wait_dscnt 0x5
	v_add_f32_e32 v88, v88, v107
	v_cndmask_b32_e64 v29, -v30, v30, s1
	v_add_f32_e32 v87, v87, v106
	ds_bpermute_b32 v106, v37, v13
	ds_bpermute_b32 v107, v37, v18
	ds_bpermute_b32 v102, v37, v177
	v_cndmask_b32_e64 v30, -v89, v89, s1
	v_cndmask_b32_e64 v34, -v34, v34, s1
	ds_bpermute_b32 v110, v37, v17
	s_wait_dscnt 0x8
	v_add_f32_e32 v191, v33, v91
	v_cndmask_b32_e64 v20, -v20, v20, s1
	v_cndmask_b32_e64 v33, -v177, v177, s1
	s_wait_dscnt 0x7
	v_add_f32_e32 v89, v30, v99
	ds_bpermute_b32 v99, v37, v12
	v_cndmask_b32_e64 v13, -v13, v13, s1
	v_cndmask_b32_e64 v18, -v18, v18, s1
	ds_bpermute_b32 v97, v37, v31
	v_cndmask_b32_e64 v17, -v17, v17, s1
	s_wait_dscnt 0x6
	v_add_f32_e32 v196, v29, v96
	ds_bpermute_b32 v96, v37, v95
	v_cndmask_b32_e64 v12, -v12, v12, s1
	s_barrier_signal -1
	s_barrier_wait -1
	s_wait_dscnt 0x6
	v_add_f32_e32 v30, v13, v106
	v_cndmask_b32_e64 v13, -v32, v32, s1
	v_add_f32_e32 v195, v20, v90
	v_cndmask_b32_e64 v20, -v31, v31, s1
	v_add_f32_e32 v86, v34, v98
	ds_bpermute_b32 v34, v37, v26
	s_wait_dscnt 0x6
	v_add_f32_e32 v31, v18, v107
	ds_bpermute_b32 v18, v37, v19
	ds_bpermute_b32 v98, v37, v103
	s_wait_dscnt 0x7
	v_add_f32_e32 v90, v33, v102
	ds_bpermute_b32 v33, v37, v32
	ds_bpermute_b32 v102, v37, v15
	s_wait_dscnt 0x7
	v_dual_add_f32 v91, v17, v110 :: v_dual_add_f32 v32, v12, v99
	v_cndmask_b32_e64 v17, -v26, v26, s1
	v_cndmask_b32_e64 v12, -v19, v19, s1
	s_wait_dscnt 0x6
	v_add_f32_e32 v147, v20, v97
	ds_bpermute_b32 v20, v37, v94
	ds_bpermute_b32 v97, v37, v16
	v_cndmask_b32_e64 v26, -v103, v103, s1
	v_cndmask_b32_e64 v15, -v15, v15, s1
	ds_bpermute_b32 v19, v37, v10
	v_cndmask_b32_e64 v10, -v10, v10, s1
	ds_bpermute_b32 v99, v37, v92
	s_wait_dscnt 0x0
	global_inv scope:SCOPE_SE
	v_add_f32_e32 v207, v12, v18
	v_cndmask_b32_e64 v12, -v16, v16, s1
	v_add_f32_e32 v133, v17, v34
	ds_bpermute_b32 v34, v37, v11
	v_cndmask_b32_e64 v17, -v95, v95, s1
	v_dual_add_f32 v148, v13, v33 :: v_dual_add_f32 v33, v15, v102
	ds_bpermute_b32 v15, v37, v93
	v_add_f32_e32 v29, v26, v98
	ds_bpermute_b32 v26, v37, v8
	v_cndmask_b32_e64 v8, -v8, v8, s1
	v_add_f32_e32 v203, v17, v96
	ds_bpermute_b32 v17, v37, v7
	v_cndmask_b32_e64 v13, -v94, v94, s1
	ds_bpermute_b32 v98, v37, v14
	v_cndmask_b32_e64 v11, -v11, v11, s1
	v_cndmask_b32_e64 v7, -v7, v7, s1
	;; [unrolled: 1-line block ×3, first 2 shown]
	v_add_f32_e32 v95, v13, v20
	ds_bpermute_b32 v13, v37, v5
	v_add_f32_e32 v94, v10, v19
	ds_bpermute_b32 v10, v37, v9
	v_cndmask_b32_e64 v16, -v92, v92, s1
	s_wait_dscnt 0x6
	v_add_f32_e32 v34, v11, v34
	ds_bpermute_b32 v11, v37, v3
	v_cndmask_b32_e64 v3, -v3, v3, s1
	v_cndmask_b32_e64 v5, -v5, v5, s1
	v_add_f32_e32 v210, v16, v99
	v_and_b32_e32 v16, 2, v0
	s_wait_dscnt 0x5
	v_add_f32_e32 v96, v8, v26
	v_add_f32_e32 v8, v12, v97
	v_cndmask_b32_e64 v12, -v93, v93, s1
	s_wait_dscnt 0x4
	v_add_f32_e32 v93, v7, v17
	v_xor_b32_e32 v7, 2, v1
	s_wait_dscnt 0x3
	v_add_f32_e32 v26, v14, v98
	ds_bpermute_b32 v14, v37, v2
	v_add_f32_e32 v92, v12, v15
	ds_bpermute_b32 v15, v37, v4
	v_cmp_gt_i32_e64 s0, 32, v7
	ds_bpermute_b32 v12, v37, v39
	s_wait_dscnt 0x5
	v_add_f32_e32 v5, v5, v13
	v_cndmask_b32_e64 v2, -v2, v2, s1
	ds_bpermute_b32 v13, v37, v21
	v_cmp_eq_u32_e64 s17, 0, v16
	s_wait_dscnt 0x4
	v_add_f32_e32 v97, v3, v11
	s_wait_alu 0xf1ff
	v_cndmask_b32_e64 v3, v1, v7, s0
	v_cndmask_b32_e64 v7, -v9, v9, s1
	v_cndmask_b32_e64 v9, -v39, v39, s1
	ds_bpermute_b32 v11, v37, v6
	v_lshlrev_b32_e32 v39, 2, v3
	v_cndmask_b32_e64 v3, -v4, v4, s1
	v_add_f32_e32 v4, v7, v10
	v_cndmask_b32_e64 v7, -v22, v22, s17
	v_cndmask_b32_e64 v10, -v101, v101, s17
	ds_bpermute_b32 v17, v39, v22
	ds_bpermute_b32 v18, v39, v100
	;; [unrolled: 1-line block ×3, first 2 shown]
	s_wait_dscnt 0x6
	v_dual_add_f32 v99, v2, v14 :: v_dual_add_f32 v2, v3, v15
	ds_bpermute_b32 v14, v39, v24
	ds_bpermute_b32 v15, v39, v25
	;; [unrolled: 1-line block ×4, first 2 shown]
	s_wait_dscnt 0x9
	v_add_f32_e32 v98, v9, v12
	v_cndmask_b32_e64 v3, -v6, v6, s1
	v_cndmask_b32_e64 v6, -v21, v21, s1
	;; [unrolled: 1-line block ×3, first 2 shown]
	ds_bpermute_b32 v12, v39, v23
	ds_bpermute_b32 v21, v39, v109
	s_wait_dscnt 0x9
	v_dual_add_f32 v100, v3, v11 :: v_dual_add_f32 v101, v6, v13
	v_cndmask_b32_e64 v11, -v105, v105, s17
	ds_bpermute_b32 v13, v39, v27
	ds_bpermute_b32 v22, v39, v113
	s_wait_dscnt 0x9
	v_dual_add_f32 v102, v7, v17 :: v_dual_add_f32 v103, v9, v18
	v_cndmask_b32_e64 v7, -v24, v24, s17
	s_wait_dscnt 0x8
	v_add_f32_e32 v6, v10, v19
	v_cndmask_b32_e64 v9, -v25, v25, s17
	v_cndmask_b32_e64 v10, -v104, v104, s17
	ds_bpermute_b32 v17, v39, v28
	ds_bpermute_b32 v18, v39, v35
	;; [unrolled: 1-line block ×3, first 2 shown]
	s_wait_dscnt 0x9
	v_dual_add_f32 v105, v7, v14 :: v_dual_add_f32 v106, v9, v15
	s_wait_dscnt 0x8
	v_add_f32_e32 v107, v10, v16
	v_cndmask_b32_e64 v10, -v35, v35, s17
	s_wait_dscnt 0x7
	v_add_f32_e32 v7, v11, v20
	ds_bpermute_b32 v14, v39, v36
	ds_bpermute_b32 v15, v39, v38
	;; [unrolled: 1-line block ×4, first 2 shown]
	v_cndmask_b32_e64 v3, -v23, v23, s17
	v_cndmask_b32_e64 v9, -v28, v28, s17
	;; [unrolled: 1-line block ×3, first 2 shown]
	ds_bpermute_b32 v23, v39, v117
	ds_bpermute_b32 v24, v39, v121
	s_wait_dscnt 0xc
	v_add_f32_e32 v104, v3, v12
	v_cndmask_b32_e64 v3, -v27, v27, s17
	v_cndmask_b32_e64 v12, -v109, v109, s17
	s_wait_dscnt 0x7
	v_dual_add_f32 v109, v9, v17 :: v_dual_add_f32 v110, v10, v18
	v_cndmask_b32_e64 v10, -v38, v38, s17
	v_add_f32_e32 v108, v3, v13
	v_cndmask_b32_e64 v3, -v36, v36, s17
	v_add_f32_e32 v9, v12, v21
	v_cndmask_b32_e64 v12, -v112, v112, s17
	v_cndmask_b32_e64 v13, -v113, v113, s17
	s_wait_dscnt 0x6
	v_add_f32_e32 v111, v11, v19
	v_cndmask_b32_e64 v11, -v40, v40, s17
	ds_bpermute_b32 v17, v39, v41
	ds_bpermute_b32 v18, v39, v42
	;; [unrolled: 1-line block ×4, first 2 shown]
	s_wait_dscnt 0x8
	v_dual_add_f32 v112, v3, v14 :: v_dual_add_f32 v113, v10, v15
	v_add_f32_e32 v10, v13, v22
	v_cndmask_b32_e64 v3, -v41, v41, s17
	s_wait_dscnt 0x6
	v_add_f32_e32 v115, v12, v20
	v_cndmask_b32_e64 v13, -v116, v116, s17
	v_add_f32_e32 v114, v11, v16
	ds_bpermute_b32 v15, v39, v44
	ds_bpermute_b32 v16, v39, v45
	;; [unrolled: 1-line block ×4, first 2 shown]
	v_cndmask_b32_e64 v11, -v42, v42, s17
	v_cndmask_b32_e64 v12, -v43, v43, s17
	;; [unrolled: 1-line block ×3, first 2 shown]
	ds_bpermute_b32 v25, v39, v125
	ds_bpermute_b32 v27, v39, v131
	s_wait_dscnt 0x9
	v_add_f32_e32 v116, v3, v17
	s_wait_dscnt 0x7
	v_dual_add_f32 v117, v11, v18 :: v_dual_add_f32 v118, v12, v19
	s_wait_dscnt 0x6
	v_add_f32_e32 v119, v13, v21
	v_cndmask_b32_e64 v3, -v44, v44, s17
	v_cndmask_b32_e64 v12, -v45, v45, s17
	;; [unrolled: 1-line block ×3, first 2 shown]
	v_add_f32_e32 v11, v14, v23
	v_cndmask_b32_e64 v14, -v120, v120, s17
	v_cndmask_b32_e64 v17, -v121, v121, s17
	ds_bpermute_b32 v18, v39, v47
	ds_bpermute_b32 v19, v39, v48
	;; [unrolled: 1-line block ×4, first 2 shown]
	s_wait_dscnt 0x8
	v_dual_add_f32 v120, v3, v15 :: v_dual_add_f32 v121, v12, v16
	s_wait_dscnt 0x6
	v_dual_add_f32 v122, v13, v20 :: v_dual_add_f32 v123, v14, v22
	v_add_f32_e32 v12, v17, v24
	ds_bpermute_b32 v17, v39, v50
	ds_bpermute_b32 v20, v39, v51
	;; [unrolled: 1-line block ×3, first 2 shown]
	v_cndmask_b32_e64 v3, -v47, v47, s17
	v_cndmask_b32_e64 v13, -v48, v48, s17
	;; [unrolled: 1-line block ×4, first 2 shown]
	ds_bpermute_b32 v24, v39, v129
	v_cndmask_b32_e64 v16, -v125, v125, s17
	ds_bpermute_b32 v28, v39, v152
	ds_bpermute_b32 v35, v39, v156
	s_wait_dscnt 0x8
	v_dual_add_f32 v124, v3, v18 :: v_dual_add_f32 v125, v13, v19
	s_wait_dscnt 0x6
	v_dual_add_f32 v126, v14, v21 :: v_dual_add_f32 v127, v15, v23
	v_cndmask_b32_e64 v3, -v50, v50, s17
	v_cndmask_b32_e64 v14, -v51, v51, s17
	;; [unrolled: 1-line block ×4, first 2 shown]
	ds_bpermute_b32 v19, v39, v53
	ds_bpermute_b32 v21, v39, v54
	ds_bpermute_b32 v23, v39, v55
	v_add_f32_e32 v13, v16, v25
	v_cndmask_b32_e64 v16, -v129, v129, s17
	ds_bpermute_b32 v25, v39, v151
	s_wait_dscnt 0x9
	v_add_f32_e32 v129, v3, v17
	v_cndmask_b32_e64 v17, -v151, v151, s17
	s_wait_dscnt 0x7
	v_add_f32_e32 v149, v15, v22
	v_cndmask_b32_e64 v15, -v54, v54, s17
	v_add_f32_e32 v131, v14, v20
	v_add_f32_e32 v14, v18, v27
	ds_bpermute_b32 v20, v39, v56
	ds_bpermute_b32 v27, v39, v155
	s_wait_dscnt 0x8
	v_add_f32_e32 v150, v16, v24
	v_cndmask_b32_e64 v3, -v53, v53, s17
	v_cndmask_b32_e64 v16, -v55, v55, s17
	;; [unrolled: 1-line block ×3, first 2 shown]
	ds_bpermute_b32 v22, v39, v57
	ds_bpermute_b32 v24, v39, v58
	;; [unrolled: 1-line block ×3, first 2 shown]
	s_wait_dscnt 0x7
	v_dual_add_f32 v152, v15, v21 :: v_dual_add_f32 v15, v18, v28
	v_cndmask_b32_e64 v18, -v155, v155, s17
	ds_bpermute_b32 v28, v39, v159
	s_wait_dscnt 0x7
	v_add_f32_e32 v153, v16, v23
	v_cndmask_b32_e64 v16, -v57, v57, s17
	v_add_f32_e32 v151, v3, v19
	v_cndmask_b32_e64 v3, -v56, v56, s17
	s_wait_dscnt 0x6
	v_add_f32_e32 v154, v17, v25
	ds_bpermute_b32 v21, v39, v59
	ds_bpermute_b32 v23, v39, v60
	;; [unrolled: 1-line block ×3, first 2 shown]
	s_wait_dscnt 0x7
	v_dual_add_f32 v155, v3, v20 :: v_dual_add_f32 v158, v18, v27
	ds_bpermute_b32 v27, v39, v64
	v_cndmask_b32_e64 v19, -v156, v156, s17
	v_cndmask_b32_e64 v17, -v58, v58, s17
	s_wait_dscnt 0x7
	v_add_f32_e32 v156, v16, v22
	v_cndmask_b32_e64 v3, -v59, v59, s17
	v_cndmask_b32_e64 v18, -v61, v61, s17
	v_add_f32_e32 v16, v19, v35
	v_cndmask_b32_e64 v19, -v159, v159, s17
	v_cndmask_b32_e64 v20, -v160, v160, s17
	ds_bpermute_b32 v22, v39, v62
	ds_bpermute_b32 v35, v39, v163
	s_wait_dscnt 0x8
	v_add_f32_e32 v157, v17, v24
	v_cndmask_b32_e64 v17, -v60, v60, s17
	ds_bpermute_b32 v24, v39, v63
	ds_bpermute_b32 v38, v39, v164
	s_wait_dscnt 0x8
	v_add_f32_e32 v162, v19, v28
	v_cndmask_b32_e64 v19, -v64, v64, s17
	s_wait_dscnt 0x6
	v_dual_add_f32 v159, v3, v21 :: v_dual_add_f32 v160, v17, v23
	v_cndmask_b32_e64 v21, -v164, v164, s17
	s_wait_dscnt 0x5
	v_add_f32_e32 v161, v18, v25
	ds_bpermute_b32 v25, v39, v66
	s_wait_dscnt 0x5
	v_add_f32_e32 v165, v19, v27
	v_cndmask_b32_e64 v19, -v66, v66, s17
	v_add_f32_e32 v17, v20, v36
	ds_bpermute_b32 v36, v39, v167
	ds_bpermute_b32 v23, v39, v65
	;; [unrolled: 1-line block ×4, first 2 shown]
	v_cndmask_b32_e64 v3, -v62, v62, s17
	v_cndmask_b32_e64 v18, -v63, v63, s17
	v_cndmask_b32_e64 v20, -v163, v163, s17
	ds_bpermute_b32 v27, v39, v69
	ds_bpermute_b32 v41, v39, v172
	s_wait_dscnt 0x8
	v_dual_add_f32 v163, v3, v22 :: v_dual_add_f32 v164, v18, v24
	s_wait_dscnt 0x7
	v_add_f32_e32 v18, v21, v38
	v_cndmask_b32_e64 v21, -v167, v167, s17
	ds_bpermute_b32 v38, v39, v171
	v_add_f32_e32 v166, v20, v35
	v_cndmask_b32_e64 v3, -v65, v65, s17
	v_cndmask_b32_e64 v20, -v67, v67, s17
	;; [unrolled: 1-line block ×3, first 2 shown]
	ds_bpermute_b32 v24, v39, v68
	ds_bpermute_b32 v35, v39, v70
	s_wait_dscnt 0x8
	v_add_f32_e32 v170, v21, v36
	ds_bpermute_b32 v36, v39, v73
	s_wait_dscnt 0x6
	v_dual_add_f32 v168, v19, v25 :: v_dual_add_f32 v19, v22, v40
	v_cndmask_b32_e64 v22, -v171, v171, s17
	v_add_f32_e32 v167, v3, v23
	v_cndmask_b32_e64 v23, -v172, v172, s17
	v_add_f32_e32 v169, v20, v28
	ds_bpermute_b32 v25, v39, v71
	ds_bpermute_b32 v28, v39, v72
	;; [unrolled: 1-line block ×4, first 2 shown]
	v_cndmask_b32_e64 v3, -v68, v68, s17
	v_cndmask_b32_e64 v20, -v69, v69, s17
	;; [unrolled: 1-line block ×3, first 2 shown]
	s_wait_dscnt 0x7
	v_add_f32_e32 v174, v22, v38
	v_cndmask_b32_e64 v22, -v73, v73, s17
	ds_bpermute_b32 v43, v39, v180
	v_add_f32_e32 v172, v20, v27
	v_add_f32_e32 v20, v23, v41
	v_cndmask_b32_e64 v23, -v175, v175, s17
	s_wait_dscnt 0x6
	v_add_f32_e32 v173, v21, v35
	v_cndmask_b32_e64 v21, -v72, v72, s17
	ds_bpermute_b32 v27, v39, v74
	ds_bpermute_b32 v35, v39, v75
	;; [unrolled: 1-line block ×3, first 2 shown]
	s_wait_dscnt 0x8
	v_add_f32_e32 v177, v22, v36
	v_cndmask_b32_e64 v22, -v75, v75, s17
	v_add_f32_e32 v171, v3, v24
	v_cndmask_b32_e64 v3, -v71, v71, s17
	v_cndmask_b32_e64 v24, -v176, v176, s17
	ds_bpermute_b32 v38, v39, v76
	s_wait_dscnt 0x7
	v_add_f32_e32 v176, v21, v28
	s_wait_dscnt 0x6
	v_add_f32_e32 v178, v23, v40
	v_add_f32_e32 v175, v3, v25
	ds_bpermute_b32 v28, v39, v77
	ds_bpermute_b32 v40, v39, v79
	v_cndmask_b32_e64 v25, -v180, v180, s17
	s_wait_dscnt 0x7
	v_add_f32_e32 v21, v24, v42
	ds_bpermute_b32 v42, v39, v183
	v_cndmask_b32_e64 v3, -v74, v74, s17
	v_cndmask_b32_e64 v24, -v179, v179, s17
	ds_bpermute_b32 v36, v39, v78
	ds_bpermute_b32 v44, v39, v184
	v_cndmask_b32_e64 v23, -v76, v76, s17
	s_wait_dscnt 0x7
	v_add_f32_e32 v180, v22, v35
	s_wait_dscnt 0x6
	v_add_f32_e32 v182, v24, v41
	v_add_f32_e32 v22, v25, v43
	v_cndmask_b32_e64 v24, -v79, v79, s17
	v_cndmask_b32_e64 v25, -v183, v183, s17
	v_add_f32_e32 v179, v3, v27
	v_cndmask_b32_e64 v3, -v77, v77, s17
	ds_bpermute_b32 v41, v39, v82
	ds_bpermute_b32 v43, v39, v187
	;; [unrolled: 1-line block ×3, first 2 shown]
	v_cndmask_b32_e64 v27, -v184, v184, s17
	s_wait_dscnt 0x6
	v_add_f32_e32 v185, v24, v40
	v_cndmask_b32_e64 v24, -v81, v81, s17
	v_add_f32_e32 v183, v3, v28
	v_cndmask_b32_e64 v28, -v188, v188, s17
	v_add_f32_e32 v181, v23, v38
	ds_bpermute_b32 v38, v39, v81
	v_cndmask_b32_e64 v23, -v78, v78, s17
	s_wait_dscnt 0x6
	v_add_f32_e32 v186, v25, v42
	ds_bpermute_b32 v42, v39, v85
	ds_bpermute_b32 v35, v39, v80
	v_cndmask_b32_e64 v25, -v82, v82, s17
	s_wait_dscnt 0x7
	v_add_f32_e32 v184, v23, v36
	s_wait_dscnt 0x6
	v_add_f32_e32 v23, v27, v44
	v_cndmask_b32_e64 v27, -v187, v187, s17
	ds_bpermute_b32 v40, v39, v84
	ds_bpermute_b32 v44, v39, v191
	ds_bpermute_b32 v36, v39, v83
	ds_bpermute_b32 v46, v39, v192
	s_wait_dscnt 0x8
	v_dual_add_f32 v189, v25, v41 :: v_dual_add_f32 v190, v27, v43
	ds_bpermute_b32 v41, v39, v87
	ds_bpermute_b32 v43, v39, v88
	v_cndmask_b32_e64 v27, -v85, v85, s17
	v_cndmask_b32_e64 v3, -v80, v80, s17
	;; [unrolled: 1-line block ×3, first 2 shown]
	s_wait_dscnt 0x8
	v_add_f32_e32 v188, v24, v38
	v_add_f32_e32 v24, v28, v45
	ds_bpermute_b32 v38, v39, v86
	ds_bpermute_b32 v45, v39, v195
	v_cndmask_b32_e64 v28, -v191, v191, s17
	s_wait_dscnt 0x9
	v_add_f32_e32 v193, v27, v42
	ds_bpermute_b32 v42, v39, v90
	ds_bpermute_b32 v48, v39, v147
	s_wait_dscnt 0xa
	v_add_f32_e32 v187, v3, v35
	v_cndmask_b32_e64 v3, -v83, v83, s17
	v_cndmask_b32_e64 v35, -v192, v192, s17
	ds_bpermute_b32 v47, v39, v196
	s_wait_dscnt 0xa
	v_add_f32_e32 v192, v25, v40
	s_wait_dscnt 0x9
	v_add_f32_e32 v194, v28, v44
	v_cndmask_b32_e64 v27, -v87, v87, s17
	v_cndmask_b32_e64 v28, -v88, v88, s17
	ds_bpermute_b32 v40, v39, v89
	s_wait_dscnt 0x8
	v_add_f32_e32 v25, v35, v46
	v_cndmask_b32_e64 v35, -v195, v195, s17
	ds_bpermute_b32 v44, v39, v91
	ds_bpermute_b32 v46, v39, v133
	v_add_f32_e32 v191, v3, v36
	v_cndmask_b32_e64 v3, -v86, v86, s17
	v_cndmask_b32_e64 v36, -v196, v196, s17
	s_wait_dscnt 0x8
	v_dual_add_f32 v196, v27, v41 :: v_dual_add_f32 v197, v28, v43
	ds_bpermute_b32 v41, v39, v29
	ds_bpermute_b32 v43, v39, v30
	s_wait_dscnt 0x9
	v_add_f32_e32 v195, v3, v38
	s_wait_dscnt 0x8
	v_add_f32_e32 v198, v35, v45
	v_cndmask_b32_e64 v28, -v90, v90, s17
	v_cndmask_b32_e64 v38, -v147, v147, s17
	ds_bpermute_b32 v45, v39, v31
	v_cndmask_b32_e64 v3, -v89, v89, s17
	s_wait_dscnt 0x6
	v_add_f32_e32 v27, v36, v47
	v_add_f32_e32 v200, v28, v42
	;; [unrolled: 1-line block ×3, first 2 shown]
	ds_bpermute_b32 v38, v39, v33
	v_cndmask_b32_e64 v35, -v91, v91, s17
	v_cndmask_b32_e64 v36, -v133, v133, s17
	ds_bpermute_b32 v47, v39, v148
	s_wait_dscnt 0x7
	v_add_f32_e32 v199, v3, v40
	v_cndmask_b32_e64 v3, -v29, v29, s17
	v_cndmask_b32_e64 v29, -v30, v30, s17
	ds_bpermute_b32 v49, v39, v203
	s_wait_dscnt 0x6
	v_dual_add_f32 v201, v35, v44 :: v_dual_add_f32 v202, v36, v46
	v_cndmask_b32_e64 v30, -v31, v31, s17
	v_cndmask_b32_e64 v35, -v203, v203, s17
	ds_bpermute_b32 v36, v39, v32
	ds_bpermute_b32 v40, v39, v207
	ds_bpermute_b32 v42, v39, v95
	s_wait_dscnt 0x7
	v_add_f32_e32 v204, v29, v43
	ds_bpermute_b32 v43, v39, v92
	v_add_f32_e32 v203, v3, v41
	ds_bpermute_b32 v41, v39, v8
	v_cndmask_b32_e64 v31, -v148, v148, s17
	s_wait_dscnt 0x8
	v_add_f32_e32 v205, v30, v45
	v_cndmask_b32_e64 v30, -v33, v33, s17
	ds_bpermute_b32 v33, v39, v34
	ds_bpermute_b32 v45, v39, v93
	;; [unrolled: 1-line block ×4, first 2 shown]
	s_wait_dscnt 0xb
	v_add_f32_e32 v208, v30, v38
	ds_bpermute_b32 v30, v39, v26
	s_wait_dscnt 0xb
	v_add_f32_e32 v206, v31, v47
	v_cndmask_b32_e64 v3, -v32, v32, s17
	v_cndmask_b32_e64 v31, -v207, v207, s17
	;; [unrolled: 1-line block ×3, first 2 shown]
	ds_bpermute_b32 v38, v39, v97
	v_cndmask_b32_e64 v8, -v8, v8, s17
	v_cndmask_b32_e64 v47, -v96, v96, s17
	s_wait_dscnt 0xa
	v_add_f32_e32 v207, v3, v36
	v_cndmask_b32_e64 v3, -v34, v34, s17
	v_cndmask_b32_e64 v36, -v92, v92, s17
	s_wait_dscnt 0x6
	v_add_f32_e32 v34, v8, v41
	v_cndmask_b32_e64 v8, -v26, v26, s17
	v_add_f32_e32 v29, v35, v49
	v_add_f32_e32 v35, v32, v42
	v_cndmask_b32_e64 v42, -v94, v94, s17
	v_xor_b32_e32 v41, 4, v1
	ds_bpermute_b32 v49, v39, v101
	v_add_f32_e32 v209, v31, v40
	ds_bpermute_b32 v31, v39, v210
	v_cndmask_b32_e64 v40, -v93, v93, s17
	s_wait_dscnt 0x5
	v_dual_add_f32 v56, v3, v33 :: v_dual_add_f32 v3, v42, v46
	v_add_f32_e32 v36, v36, v43
	ds_bpermute_b32 v43, v39, v5
	v_add_f32_e32 v33, v40, v45
	ds_bpermute_b32 v45, v39, v98
	ds_bpermute_b32 v46, v39, v99
	v_cmp_gt_i32_e64 s0, 32, v41
	v_cndmask_b32_e64 v42, -v97, v97, s17
	s_wait_dscnt 0x6
	v_add_f32_e32 v40, v8, v30
	v_add_f32_e32 v32, v47, v44
	v_cndmask_b32_e64 v26, -v210, v210, s17
	s_wait_alu 0xf1ff
	v_cndmask_b32_e64 v8, v1, v41, s0
	ds_bpermute_b32 v44, v39, v4
	s_wait_dscnt 0x6
	v_add_f32_e32 v30, v42, v38
	v_cndmask_b32_e64 v5, -v5, v5, s17
	v_cndmask_b32_e64 v47, -v99, v99, s17
	s_wait_dscnt 0x4
	v_dual_add_f32 v31, v26, v31 :: v_dual_lshlrev_b32 v38, 2, v8
	v_and_b32_e32 v50, 4, v0
	v_cndmask_b32_e64 v26, -v98, v98, s17
	ds_bpermute_b32 v8, v39, v2
	ds_bpermute_b32 v48, v39, v100
	ds_bpermute_b32 v51, v38, v102
	ds_bpermute_b32 v52, v38, v103
	v_cndmask_b32_e64 v4, -v4, v4, s17
	s_wait_dscnt 0x7
	v_add_f32_e32 v41, v5, v43
	s_wait_dscnt 0x5
	v_dual_add_f32 v43, v26, v45 :: v_dual_add_f32 v26, v47, v46
	v_cmp_eq_u32_e64 s0, 0, v50
	ds_bpermute_b32 v46, v38, v6
	ds_bpermute_b32 v47, v38, v104
	;; [unrolled: 1-line block ×4, first 2 shown]
	s_wait_dscnt 0x8
	v_add_f32_e32 v42, v4, v44
	v_cndmask_b32_e64 v2, -v2, v2, s17
	v_cndmask_b32_e64 v4, -v100, v100, s17
	v_cndmask_b32_e64 v5, -v101, v101, s17
	s_wait_alu 0xf1ff
	v_cndmask_b32_e64 v44, -v102, v102, s0
	v_cndmask_b32_e64 v45, -v103, v103, s0
	ds_bpermute_b32 v53, v38, v106
	s_wait_dscnt 0x8
	v_dual_add_f32 v133, v2, v8 :: v_dual_add_f32 v148, v5, v49
	s_wait_dscnt 0x6
	v_add_f32_e32 v44, v44, v51
	v_cndmask_b32_e64 v2, -v6, v6, s0
	v_cndmask_b32_e64 v5, -v104, v104, s0
	v_add_f32_e32 v147, v4, v48
	s_wait_dscnt 0x5
	v_add_f32_e32 v4, v45, v52
	v_cndmask_b32_e64 v6, -v105, v105, s0
	v_cndmask_b32_e64 v49, -v107, v107, s0
	ds_bpermute_b32 v51, v38, v7
	ds_bpermute_b32 v52, v38, v108
	;; [unrolled: 1-line block ×5, first 2 shown]
	v_cndmask_b32_e64 v8, -v106, v106, s0
	s_wait_dscnt 0x8
	v_dual_add_f32 v45, v2, v46 :: v_dual_add_f32 v46, v5, v47
	s_wait_dscnt 0x7
	v_add_f32_e32 v47, v6, v50
	v_cndmask_b32_e64 v6, -v108, v108, s0
	s_wait_dscnt 0x6
	v_add_f32_e32 v5, v49, v54
	ds_bpermute_b32 v54, v38, v9
	ds_bpermute_b32 v59, v38, v112
	;; [unrolled: 1-line block ×9, first 2 shown]
	s_wait_dscnt 0xe
	v_add_f32_e32 v48, v8, v53
	v_cndmask_b32_e64 v2, -v7, v7, s0
	v_cndmask_b32_e64 v7, -v109, v109, s0
	;; [unrolled: 1-line block ×4, first 2 shown]
	ds_bpermute_b32 v65, v38, v117
	ds_bpermute_b32 v70, v38, v121
	;; [unrolled: 1-line block ×3, first 2 shown]
	s_wait_dscnt 0x10
	v_add_f32_e32 v49, v2, v51
	s_wait_dscnt 0xe
	v_dual_add_f32 v50, v6, v52 :: v_dual_add_f32 v51, v7, v55
	s_wait_dscnt 0xc
	v_add_f32_e32 v6, v53, v58
	v_add_f32_e32 v52, v8, v57
	v_cndmask_b32_e64 v2, -v9, v9, s0
	v_cndmask_b32_e64 v7, -v112, v112, s0
	;; [unrolled: 1-line block ×4, first 2 shown]
	ds_bpermute_b32 v68, v38, v11
	ds_bpermute_b32 v69, v38, v120
	;; [unrolled: 1-line block ×3, first 2 shown]
	v_cndmask_b32_e64 v9, -v114, v114, s0
	s_wait_dscnt 0xd
	v_dual_add_f32 v53, v2, v54 :: v_dual_add_f32 v54, v7, v59
	s_wait_dscnt 0xb
	v_add_f32_e32 v7, v58, v62
	v_cndmask_b32_e64 v2, -v10, v10, s0
	v_add_f32_e32 v55, v8, v60
	v_cndmask_b32_e64 v8, -v116, v116, s0
	v_cndmask_b32_e64 v10, -v118, v118, s0
	;; [unrolled: 1-line block ×3, first 2 shown]
	s_wait_dscnt 0xa
	v_add_f32_e32 v57, v9, v61
	v_cndmask_b32_e64 v9, -v117, v117, s0
	s_wait_dscnt 0x9
	v_add_f32_e32 v58, v2, v63
	v_cndmask_b32_e64 v2, -v11, v11, s0
	v_cndmask_b32_e64 v11, -v122, v122, s0
	ds_bpermute_b32 v74, v38, v125
	ds_bpermute_b32 v77, v38, v131
	s_wait_dscnt 0x9
	v_add_f32_e32 v61, v10, v66
	v_cndmask_b32_e64 v10, -v121, v121, s0
	s_wait_dscnt 0x8
	v_dual_add_f32 v59, v8, v64 :: v_dual_add_f32 v8, v62, v67
	ds_bpermute_b32 v67, v38, v12
	s_wait_dscnt 0x8
	v_add_f32_e32 v60, v9, v65
	v_cndmask_b32_e64 v9, -v120, v120, s0
	v_cndmask_b32_e64 v66, -v123, v123, s0
	ds_bpermute_b32 v73, v38, v124
	ds_bpermute_b32 v75, v38, v126
	ds_bpermute_b32 v76, v38, v127
	s_wait_dscnt 0xa
	v_add_f32_e32 v64, v10, v70
	v_cndmask_b32_e64 v70, -v127, v127, s0
	s_wait_dscnt 0x9
	v_add_f32_e32 v65, v11, v71
	ds_bpermute_b32 v71, v38, v13
	ds_bpermute_b32 v78, v38, v149
	s_wait_dscnt 0x9
	v_dual_add_f32 v62, v2, v68 :: v_dual_add_f32 v63, v9, v69
	v_cndmask_b32_e64 v11, -v125, v125, s0
	s_wait_dscnt 0x8
	v_add_f32_e32 v9, v66, v72
	ds_bpermute_b32 v72, v38, v129
	ds_bpermute_b32 v79, v38, v150
	v_cndmask_b32_e64 v2, -v12, v12, s0
	v_cndmask_b32_e64 v10, -v124, v124, s0
	v_cndmask_b32_e64 v12, -v126, v126, s0
	s_wait_dscnt 0x9
	v_add_f32_e32 v68, v11, v74
	v_cndmask_b32_e64 v11, -v129, v129, s0
	s_wait_dscnt 0x7
	v_add_f32_e32 v66, v2, v67
	v_cndmask_b32_e64 v2, -v13, v13, s0
	v_cndmask_b32_e64 v13, -v149, v149, s0
	;; [unrolled: 1-line block ×3, first 2 shown]
	ds_bpermute_b32 v80, v38, v152
	s_wait_dscnt 0x7
	v_add_f32_e32 v67, v10, v73
	s_wait_dscnt 0x5
	v_add_f32_e32 v10, v70, v76
	ds_bpermute_b32 v82, v38, v154
	s_wait_dscnt 0x4
	v_dual_add_f32 v70, v2, v71 :: v_dual_add_f32 v73, v13, v78
	v_cndmask_b32_e64 v78, -v154, v154, s0
	v_add_f32_e32 v69, v12, v75
	ds_bpermute_b32 v75, v38, v14
	ds_bpermute_b32 v76, v38, v151
	;; [unrolled: 1-line block ×3, first 2 shown]
	s_wait_dscnt 0x6
	v_add_f32_e32 v71, v11, v72
	ds_bpermute_b32 v89, v38, v160
	s_wait_dscnt 0x6
	v_add_f32_e32 v11, v74, v79
	ds_bpermute_b32 v79, v38, v15
	ds_bpermute_b32 v83, v38, v155
	;; [unrolled: 1-line block ×6, first 2 shown]
	v_cndmask_b32_e64 v12, -v131, v131, s0
	v_cndmask_b32_e64 v2, -v14, v14, s0
	ds_bpermute_b32 v88, v38, v159
	ds_bpermute_b32 v90, v38, v161
	ds_bpermute_b32 v91, v38, v162
	ds_bpermute_b32 v95, v38, v165
	v_add_f32_e32 v72, v12, v77
	v_cndmask_b32_e64 v12, -v151, v151, s0
	v_cndmask_b32_e64 v13, -v152, v152, s0
	;; [unrolled: 1-line block ×3, first 2 shown]
	s_wait_dscnt 0xd
	v_add_f32_e32 v74, v2, v75
	v_cndmask_b32_e64 v2, -v15, v15, s0
	ds_bpermute_b32 v93, v38, v163
	ds_bpermute_b32 v96, v38, v166
	s_wait_dscnt 0xe
	v_add_f32_e32 v75, v12, v76
	v_add_f32_e32 v76, v13, v80
	;; [unrolled: 1-line block ×3, first 2 shown]
	v_cndmask_b32_e64 v13, -v155, v155, s0
	v_cndmask_b32_e64 v15, -v157, v157, s0
	;; [unrolled: 1-line block ×3, first 2 shown]
	s_wait_dscnt 0xb
	v_add_f32_e32 v78, v2, v79
	v_cndmask_b32_e64 v2, -v16, v16, s0
	ds_bpermute_b32 v94, v38, v164
	v_add_f32_e32 v77, v14, v81
	v_cndmask_b32_e64 v14, -v156, v156, s0
	s_wait_dscnt 0xb
	v_add_f32_e32 v79, v13, v83
	s_wait_dscnt 0x9
	v_add_f32_e32 v81, v15, v85
	v_cndmask_b32_e64 v15, -v160, v160, s0
	v_cndmask_b32_e64 v16, -v161, v161, s0
	v_add_f32_e32 v80, v14, v84
	v_cndmask_b32_e64 v14, -v159, v159, s0
	ds_bpermute_b32 v92, v38, v17
	ds_bpermute_b32 v104, v38, v176
	s_wait_dscnt 0xa
	v_add_f32_e32 v13, v82, v86
	v_cndmask_b32_e64 v86, -v162, v162, s0
	s_wait_dscnt 0x7
	v_dual_add_f32 v82, v2, v87 :: v_dual_add_f32 v85, v16, v90
	v_cndmask_b32_e64 v2, -v17, v17, s0
	v_cndmask_b32_e64 v17, -v165, v165, s0
	v_add_f32_e32 v84, v15, v89
	v_cndmask_b32_e64 v15, -v163, v163, s0
	v_cndmask_b32_e64 v90, -v166, v166, s0
	ds_bpermute_b32 v98, v38, v168
	ds_bpermute_b32 v99, v38, v169
	;; [unrolled: 1-line block ×3, first 2 shown]
	s_wait_dscnt 0x8
	v_add_f32_e32 v89, v17, v95
	v_cndmask_b32_e64 v17, -v168, v168, s0
	v_add_f32_e32 v83, v14, v88
	s_wait_dscnt 0x7
	v_dual_add_f32 v14, v86, v91 :: v_dual_add_f32 v87, v15, v93
	ds_bpermute_b32 v91, v38, v18
	ds_bpermute_b32 v97, v38, v167
	;; [unrolled: 1-line block ×5, first 2 shown]
	s_wait_dscnt 0xb
	v_add_f32_e32 v15, v90, v96
	ds_bpermute_b32 v96, v38, v171
	v_cndmask_b32_e64 v16, -v164, v164, s0
	ds_bpermute_b32 v101, v38, v172
	ds_bpermute_b32 v102, v38, v173
	;; [unrolled: 1-line block ×4, first 2 shown]
	s_wait_dscnt 0xf
	v_add_f32_e32 v88, v16, v94
	v_cndmask_b32_e64 v16, -v167, v167, s0
	s_wait_dscnt 0xe
	v_add_f32_e32 v86, v2, v92
	v_cndmask_b32_e64 v2, -v18, v18, s0
	v_cndmask_b32_e64 v18, -v169, v169, s0
	;; [unrolled: 1-line block ×3, first 2 shown]
	s_wait_dscnt 0xc
	v_add_f32_e32 v92, v17, v98
	v_cndmask_b32_e64 v17, -v171, v171, s0
	s_wait_dscnt 0x9
	v_add_f32_e32 v90, v2, v91
	v_add_f32_e32 v93, v18, v99
	v_cndmask_b32_e64 v2, -v19, v19, s0
	v_cndmask_b32_e64 v98, -v174, v174, s0
	ds_bpermute_b32 v99, v38, v20
	s_wait_dscnt 0x9
	v_dual_add_f32 v91, v16, v97 :: v_dual_add_f32 v16, v94, v100
	v_cndmask_b32_e64 v19, -v173, v173, s0
	ds_bpermute_b32 v100, v38, v175
	ds_bpermute_b32 v106, v38, v178
	s_wait_dscnt 0x7
	v_dual_add_f32 v94, v2, v95 :: v_dual_add_f32 v95, v17, v96
	ds_bpermute_b32 v109, v38, v181
	ds_bpermute_b32 v122, v38, v192
	v_add_f32_e32 v17, v98, v103
	ds_bpermute_b32 v103, v38, v21
	ds_bpermute_b32 v107, v38, v179
	;; [unrolled: 1-line block ×4, first 2 shown]
	v_cndmask_b32_e64 v18, -v172, v172, s0
	v_cndmask_b32_e64 v2, -v20, v20, s0
	;; [unrolled: 1-line block ×3, first 2 shown]
	ds_bpermute_b32 v111, v38, v22
	ds_bpermute_b32 v112, v38, v183
	;; [unrolled: 1-line block ×5, first 2 shown]
	s_wait_dscnt 0x10
	v_dual_add_f32 v96, v18, v101 :: v_dual_add_f32 v97, v19, v102
	v_cndmask_b32_e64 v18, -v175, v175, s0
	v_cndmask_b32_e64 v19, -v176, v176, s0
	;; [unrolled: 1-line block ×3, first 2 shown]
	s_wait_dscnt 0xd
	v_dual_add_f32 v98, v2, v99 :: v_dual_add_f32 v101, v20, v105
	v_cndmask_b32_e64 v2, -v21, v21, s0
	v_cndmask_b32_e64 v20, -v180, v180, s0
	;; [unrolled: 1-line block ×3, first 2 shown]
	ds_bpermute_b32 v125, v38, v196
	s_wait_dscnt 0xd
	v_add_f32_e32 v99, v18, v100
	v_add_f32_e32 v100, v19, v104
	s_wait_dscnt 0xb
	v_dual_add_f32 v18, v102, v106 :: v_dual_add_f32 v105, v21, v109
	v_cndmask_b32_e64 v19, -v179, v179, s0
	v_cndmask_b32_e64 v106, -v182, v182, s0
	v_add_f32_e32 v104, v20, v108
	v_cndmask_b32_e64 v20, -v183, v183, s0
	s_wait_dscnt 0x9
	v_add_f32_e32 v102, v2, v103
	v_cndmask_b32_e64 v2, -v22, v22, s0
	v_cndmask_b32_e64 v21, -v184, v184, s0
	;; [unrolled: 1-line block ×3, first 2 shown]
	s_wait_dscnt 0x8
	v_add_f32_e32 v103, v19, v107
	ds_bpermute_b32 v116, v38, v23
	ds_bpermute_b32 v118, v38, v188
	;; [unrolled: 1-line block ×3, first 2 shown]
	v_add_f32_e32 v108, v21, v113
	v_cndmask_b32_e64 v21, -v187, v187, s0
	ds_bpermute_b32 v128, v38, v200
	s_wait_dscnt 0xb
	v_add_f32_e32 v19, v106, v110
	v_cndmask_b32_e64 v110, -v186, v186, s0
	ds_bpermute_b32 v136, v38, v207
	s_wait_dscnt 0xb
	v_add_f32_e32 v109, v22, v114
	v_cndmask_b32_e64 v114, -v190, v190, s0
	s_wait_dscnt 0x7
	v_dual_add_f32 v106, v2, v111 :: v_dual_add_f32 v111, v21, v117
	v_add_f32_e32 v107, v20, v112
	ds_bpermute_b32 v121, v38, v191
	ds_bpermute_b32 v123, v38, v193
	;; [unrolled: 1-line block ×4, first 2 shown]
	s_wait_dscnt 0xa
	v_add_f32_e32 v21, v114, v120
	ds_bpermute_b32 v120, v38, v195
	v_add_f32_e32 v20, v110, v115
	ds_bpermute_b32 v115, v38, v24
	v_cndmask_b32_e64 v2, -v23, v23, s0
	v_cndmask_b32_e64 v22, -v188, v188, s0
	;; [unrolled: 1-line block ×3, first 2 shown]
	ds_bpermute_b32 v126, v38, v197
	ds_bpermute_b32 v127, v38, v198
	s_wait_dscnt 0xc
	v_add_f32_e32 v110, v2, v116
	v_cndmask_b32_e64 v2, -v24, v24, s0
	s_wait_dscnt 0xa
	v_add_f32_e32 v113, v23, v119
	v_cndmask_b32_e64 v24, -v193, v193, s0
	v_add_f32_e32 v112, v22, v118
	v_cndmask_b32_e64 v22, -v191, v191, s0
	v_cndmask_b32_e64 v118, -v194, v194, s0
	ds_bpermute_b32 v119, v38, v25
	s_wait_dscnt 0x7
	v_add_f32_e32 v117, v24, v123
	ds_bpermute_b32 v123, v38, v27
	ds_bpermute_b32 v129, v38, v201
	ds_bpermute_b32 v130, v38, v202
	v_cndmask_b32_e64 v23, -v192, v192, s0
	v_cndmask_b32_e64 v24, -v196, v196, s0
	s_wait_dscnt 0x6
	v_add_f32_e32 v114, v2, v115
	v_add_f32_e32 v115, v22, v121
	v_add_f32_e32 v22, v118, v124
	ds_bpermute_b32 v124, v38, v199
	v_add_f32_e32 v116, v23, v122
	v_cndmask_b32_e64 v2, -v25, v25, s0
	v_cndmask_b32_e64 v23, -v195, v195, s0
	;; [unrolled: 1-line block ×4, first 2 shown]
	ds_bpermute_b32 v132, v38, v204
	ds_bpermute_b32 v131, v38, v203
	ds_bpermute_b32 v135, v38, v206
	s_wait_dscnt 0x7
	v_dual_add_f32 v121, v25, v126 :: v_dual_add_f32 v118, v2, v119
	v_dual_add_f32 v119, v23, v120 :: v_dual_add_f32 v120, v24, v125
	v_add_f32_e32 v23, v122, v127
	v_cndmask_b32_e64 v2, -v27, v27, s0
	v_cndmask_b32_e64 v24, -v199, v199, s0
	;; [unrolled: 1-line block ×5, first 2 shown]
	ds_bpermute_b32 v127, v38, v28
	ds_bpermute_b32 v134, v38, v205
	;; [unrolled: 1-line block ×3, first 2 shown]
	s_wait_dscnt 0x8
	v_add_f32_e32 v125, v27, v129
	v_cndmask_b32_e64 v27, -v204, v204, s0
	s_wait_dscnt 0x6
	v_dual_add_f32 v122, v2, v123 :: v_dual_add_f32 v123, v24, v124
	v_add_f32_e32 v124, v25, v128
	v_cndmask_b32_e64 v25, -v203, v203, s0
	v_add_f32_e32 v24, v126, v130
	ds_bpermute_b32 v130, v38, v29
	v_cndmask_b32_e64 v2, -v28, v28, s0
	v_cndmask_b32_e64 v28, -v205, v205, s0
	;; [unrolled: 1-line block ×3, first 2 shown]
	s_wait_dscnt 0x6
	v_add_f32_e32 v129, v27, v132
	ds_bpermute_b32 v132, v38, v56
	ds_bpermute_b32 v139, v38, v35
	;; [unrolled: 1-line block ×3, first 2 shown]
	v_cndmask_b32_e64 v33, -v33, v33, s0
	v_cndmask_b32_e64 v27, -v207, v207, s0
	s_wait_dscnt 0x6
	v_add_f32_e32 v126, v2, v127
	v_cndmask_b32_e64 v2, -v29, v29, s0
	v_add_f32_e32 v127, v25, v131
	v_add_f32_e32 v25, v128, v135
	ds_bpermute_b32 v128, v38, v32
	s_wait_dscnt 0x6
	v_add_f32_e32 v131, v28, v134
	v_cndmask_b32_e64 v28, -v208, v208, s0
	ds_bpermute_b32 v134, v38, v34
	v_cndmask_b32_e64 v29, -v209, v209, s0
	ds_bpermute_b32 v135, v38, v36
	s_wait_dscnt 0x6
	v_add_f32_e32 v149, v2, v130
	v_cndmask_b32_e64 v2, -v32, v32, s0
	ds_bpermute_b32 v32, v38, v3
	ds_bpermute_b32 v130, v38, v40
	v_add_f32_e32 v151, v28, v137
	v_cndmask_b32_e64 v28, -v56, v56, s0
	v_cndmask_b32_e64 v35, -v35, v35, s0
	v_cndmask_b32_e64 v3, -v3, v3, s0
	v_add_f32_e32 v150, v27, v136
	v_add_f32_e32 v152, v29, v138
	s_wait_dscnt 0x7
	v_add_f32_e32 v56, v28, v132
	ds_bpermute_b32 v132, v38, v43
	v_cndmask_b32_e64 v29, -v34, v34, s0
	ds_bpermute_b32 v136, v38, v31
	v_cndmask_b32_e64 v34, -v36, v36, s0
	;; [unrolled: 2-line block ×3, first 2 shown]
	s_wait_dscnt 0x6
	v_add_f32_e32 v28, v29, v134
	v_and_b32_e32 v134, 8, v0
	v_cndmask_b32_e64 v30, -v30, v30, s0
	s_wait_dscnt 0x4
	v_add_f32_e32 v179, v3, v32
	v_cndmask_b32_e64 v32, -v42, v42, s0
	v_add_f32_e32 v27, v35, v139
	v_add_f32_e32 v35, v2, v128
	;; [unrolled: 1-line block ×3, first 2 shown]
	v_xor_b32_e32 v33, 8, v1
	ds_bpermute_b32 v128, v38, v42
	ds_bpermute_b32 v42, v38, v147
	v_cmp_gt_i32_e64 s18, 32, v33
	s_wait_dscnt 0x2
	v_add_f32_e32 v181, v30, v36
	v_cndmask_b32_e64 v30, -v133, v133, s0
	s_wait_alu 0xf1ff
	v_cndmask_b32_e64 v3, v1, v33, s18
	v_cndmask_b32_e64 v33, -v43, v43, s0
	v_cmp_eq_u32_e64 s18, 0, v134
	ds_bpermute_b32 v43, v38, v148
	v_add_f32_e32 v177, v31, v136
	v_cndmask_b32_e64 v31, -v41, v41, s0
	v_add_f32_e32 v155, v33, v132
	s_wait_alu 0xf1ff
	v_cndmask_b32_e64 v33, -v44, v44, s18
	v_add_f32_e32 v29, v34, v135
	v_cndmask_b32_e64 v34, -v40, v40, s0
	ds_bpermute_b32 v40, v38, v41
	s_wait_dscnt 0x3
	v_add_f32_e32 v154, v32, v128
	v_cndmask_b32_e64 v32, -v148, v148, s0
	ds_bpermute_b32 v41, v38, v133
	v_add_f32_e32 v180, v34, v130
	ds_bpermute_b32 v34, v38, v26
	v_cndmask_b32_e64 v26, -v26, v26, s0
	s_wait_dscnt 0x3
	v_add_f32_e32 v172, v32, v43
	v_cndmask_b32_e64 v32, -v47, v47, s18
	s_wait_dscnt 0x2
	v_add_f32_e32 v153, v31, v40
	;; [unrolled: 3-line block ×4, first 2 shown]
	v_add_f32_e32 v171, v31, v42
	v_cndmask_b32_e64 v31, -v46, v46, s18
	v_lshlrev_b32_e32 v3, 2, v3
	ds_bpermute_b32 v130, v3, v44
	ds_bpermute_b32 v44, v3, v46
	s_wait_dscnt 0x1
	v_add_f32_e32 v26, v33, v130
	s_wait_dscnt 0x0
	v_add_f32_e32 v148, v31, v44
	ds_bpermute_b32 v128, v3, v47
	ds_bpermute_b32 v43, v3, v51
	;; [unrolled: 1-line block ×11, first 2 shown]
	v_cndmask_b32_e64 v4, -v4, v4, s18
	v_cndmask_b32_e64 v33, -v48, v48, s18
	;; [unrolled: 1-line block ×3, first 2 shown]
	ds_bpermute_b32 v47, v3, v57
	v_cndmask_b32_e64 v5, -v5, v5, s18
	ds_bpermute_b32 v48, v3, v85
	s_wait_dscnt 0xc
	v_add_f32_e32 v156, v32, v128
	v_cndmask_b32_e64 v32, -v51, v51, s18
	s_wait_dscnt 0x8
	v_add_f32_e32 v133, v4, v36
	s_wait_dscnt 0x7
	v_add_f32_e32 v4, v33, v132
	v_add_f32_e32 v160, v32, v43
	v_cndmask_b32_e64 v32, -v55, v55, s18
	ds_bpermute_b32 v43, v3, v60
	v_cndmask_b32_e64 v33, -v52, v52, s18
	ds_bpermute_b32 v36, v3, v6
	s_wait_dscnt 0x7
	v_add_f32_e32 v159, v31, v42
	v_add_f32_e32 v164, v32, v46
	v_cndmask_b32_e64 v32, -v60, v60, s18
	v_add_f32_e32 v147, v30, v40
	v_cndmask_b32_e64 v30, -v49, v49, s18
	ds_bpermute_b32 v40, v3, v53
	v_cndmask_b32_e64 v31, -v54, v54, s18
	ds_bpermute_b32 v42, v3, v59
	s_wait_dscnt 0x7
	v_dual_add_f32 v157, v5, v34 :: v_dual_add_f32 v158, v30, v41
	ds_bpermute_b32 v41, v3, v58
	v_add_f32_e32 v30, v33, v45
	ds_bpermute_b32 v45, v3, v61
	v_cndmask_b32_e64 v5, -v6, v6, s18
	v_cndmask_b32_e64 v6, -v53, v53, s18
	ds_bpermute_b32 v34, v3, v7
	s_wait_dscnt 0x9
	v_add_f32_e32 v163, v31, v44
	ds_bpermute_b32 v44, v3, v63
	v_cndmask_b32_e64 v33, -v57, v57, s18
	s_wait_dscnt 0x7
	v_add_f32_e32 v168, v32, v43
	ds_bpermute_b32 v46, v3, v64
	ds_bpermute_b32 v43, v3, v68
	s_wait_dscnt 0x7
	v_add_f32_e32 v162, v6, v40
	v_cndmask_b32_e64 v6, -v58, v58, s18
	v_add_f32_e32 v161, v5, v36
	v_cndmask_b32_e64 v5, -v7, v7, s18
	v_cndmask_b32_e64 v7, -v59, v59, s18
	ds_bpermute_b32 v36, v3, v8
	ds_bpermute_b32 v40, v3, v62
	s_wait_dscnt 0x7
	v_add_f32_e32 v166, v6, v41
	v_cndmask_b32_e64 v6, -v62, v62, s18
	v_add_f32_e32 v31, v33, v47
	v_cndmask_b32_e64 v33, -v61, v61, s18
	ds_bpermute_b32 v47, v3, v65
	ds_bpermute_b32 v41, v3, v66
	s_wait_dscnt 0x8
	v_add_f32_e32 v32, v33, v45
	ds_bpermute_b32 v45, v3, v69
	v_add_f32_e32 v167, v7, v42
	v_cndmask_b32_e64 v7, -v63, v63, s18
	v_cndmask_b32_e64 v33, -v65, v65, s18
	ds_bpermute_b32 v42, v3, v67
	s_wait_dscnt 0x8
	v_add_f32_e32 v65, v7, v44
	ds_bpermute_b32 v44, v3, v71
	v_add_f32_e32 v165, v5, v34
	ds_bpermute_b32 v34, v3, v9
	v_cndmask_b32_e64 v5, -v8, v8, s18
	v_cndmask_b32_e64 v7, -v67, v67, s18
	;; [unrolled: 1-line block ×3, first 2 shown]
	s_wait_dscnt 0x6
	v_add_f32_e32 v64, v6, v40
	v_cndmask_b32_e64 v6, -v66, v66, s18
	v_add_f32_e32 v63, v5, v36
	ds_bpermute_b32 v36, v3, v10
	v_cndmask_b32_e64 v5, -v9, v9, s18
	ds_bpermute_b32 v40, v3, v70
	v_cndmask_b32_e64 v9, -v69, v69, s18
	s_wait_dscnt 0x2
	v_add_f32_e32 v66, v5, v34
	v_cndmask_b32_e64 v5, -v10, v10, s18
	v_add_f32_e32 v169, v8, v46
	v_cndmask_b32_e64 v8, -v68, v68, s18
	;; [unrolled: 2-line block ×3, first 2 shown]
	ds_bpermute_b32 v46, v3, v72
	ds_bpermute_b32 v10, v3, v11
	v_add_f32_e32 v69, v8, v43
	v_cndmask_b32_e64 v8, -v72, v72, s18
	ds_bpermute_b32 v42, v3, v75
	v_add_f32_e32 v72, v7, v44
	v_cndmask_b32_e64 v7, -v75, v75, s18
	v_add_f32_e32 v33, v33, v47
	ds_bpermute_b32 v47, v3, v73
	v_add_f32_e32 v34, v9, v45
	v_cndmask_b32_e64 v9, -v73, v73, s18
	v_add_f32_e32 v67, v6, v41
	v_cndmask_b32_e64 v6, -v70, v70, s18
	ds_bpermute_b32 v41, v3, v74
	ds_bpermute_b32 v43, v3, v76
	;; [unrolled: 1-line block ×3, first 2 shown]
	s_wait_dscnt 0x8
	v_add_f32_e32 v70, v5, v36
	v_cndmask_b32_e64 v5, -v11, v11, s18
	ds_bpermute_b32 v11, v3, v12
	ds_bpermute_b32 v44, v3, v79
	s_wait_dscnt 0x9
	v_add_f32_e32 v71, v6, v40
	ds_bpermute_b32 v40, v3, v78
	s_wait_dscnt 0x9
	v_add_f32_e32 v73, v8, v46
	v_cndmask_b32_e64 v6, -v74, v74, s18
	v_cndmask_b32_e64 v8, -v76, v76, s18
	ds_bpermute_b32 v46, v3, v80
	s_wait_dscnt 0x9
	v_add_f32_e32 v74, v5, v10
	s_wait_dscnt 0x8
	v_add_f32_e32 v76, v7, v42
	;; [unrolled: 2-line block ×3, first 2 shown]
	v_cndmask_b32_e64 v9, -v77, v77, s18
	ds_bpermute_b32 v47, v3, v81
	v_cndmask_b32_e64 v5, -v12, v12, s18
	v_cndmask_b32_e64 v7, -v79, v79, s18
	ds_bpermute_b32 v10, v3, v13
	s_wait_dscnt 0x8
	v_add_f32_e32 v75, v6, v41
	v_cndmask_b32_e64 v6, -v78, v78, s18
	ds_bpermute_b32 v12, v3, v82
	s_wait_dscnt 0x6
	v_add_f32_e32 v78, v5, v11
	v_cndmask_b32_e64 v5, -v13, v13, s18
	v_add_f32_e32 v77, v8, v43
	v_cndmask_b32_e64 v8, -v80, v80, s18
	ds_bpermute_b32 v43, v3, v83
	s_wait_dscnt 0x6
	v_add_f32_e32 v80, v7, v44
	v_cndmask_b32_e64 v7, -v83, v83, s18
	v_add_f32_e32 v41, v9, v45
	ds_bpermute_b32 v45, v3, v84
	ds_bpermute_b32 v11, v3, v14
	;; [unrolled: 1-line block ×3, first 2 shown]
	v_cndmask_b32_e64 v9, -v81, v81, s18
	s_wait_dscnt 0x8
	v_add_f32_e32 v79, v6, v40
	ds_bpermute_b32 v40, v3, v87
	s_wait_dscnt 0x8
	v_add_f32_e32 v81, v8, v46
	v_cndmask_b32_e64 v6, -v82, v82, s18
	s_wait_dscnt 0x7
	v_add_f32_e32 v42, v9, v47
	v_cndmask_b32_e64 v8, -v84, v84, s18
	v_cndmask_b32_e64 v9, -v85, v85, s18
	ds_bpermute_b32 v44, v3, v88
	ds_bpermute_b32 v46, v3, v89
	s_wait_dscnt 0x8
	v_add_f32_e32 v82, v5, v10
	v_cndmask_b32_e64 v5, -v14, v14, s18
	ds_bpermute_b32 v14, v3, v91
	s_wait_dscnt 0x7
	v_dual_add_f32 v84, v7, v43 :: v_dual_add_f32 v43, v9, v48
	v_cndmask_b32_e64 v9, -v89, v89, s18
	v_add_f32_e32 v83, v6, v12
	v_cndmask_b32_e64 v6, -v86, v86, s18
	ds_bpermute_b32 v10, v3, v15
	ds_bpermute_b32 v12, v3, v90
	;; [unrolled: 1-line block ×3, first 2 shown]
	s_wait_dscnt 0x8
	v_add_f32_e32 v86, v5, v11
	v_cndmask_b32_e64 v5, -v15, v15, s18
	v_add_f32_e32 v85, v8, v45
	ds_bpermute_b32 v45, v3, v92
	ds_bpermute_b32 v15, v3, v95
	v_cndmask_b32_e64 v7, -v87, v87, s18
	ds_bpermute_b32 v11, v3, v16
	s_wait_dscnt 0xa
	v_add_f32_e32 v87, v6, v13
	ds_bpermute_b32 v13, v3, v94
	v_cndmask_b32_e64 v8, -v88, v88, s18
	s_wait_dscnt 0xa
	v_add_f32_e32 v88, v7, v40
	v_cndmask_b32_e64 v7, -v91, v91, s18
	v_cndmask_b32_e64 v6, -v90, v90, s18
	ds_bpermute_b32 v40, v3, v96
	s_wait_dscnt 0x9
	v_dual_add_f32 v89, v8, v44 :: v_dual_add_f32 v44, v9, v46
	v_cndmask_b32_e64 v8, -v92, v92, s18
	v_cndmask_b32_e64 v9, -v93, v93, s18
	s_wait_dscnt 0x8
	v_add_f32_e32 v92, v7, v14
	v_cndmask_b32_e64 v7, -v95, v95, s18
	ds_bpermute_b32 v46, v3, v97
	s_wait_dscnt 0x8
	v_add_f32_e32 v90, v5, v10
	v_cndmask_b32_e64 v5, -v16, v16, s18
	ds_bpermute_b32 v10, v3, v17
	;; [unrolled: 4-line block ×3, first 2 shown]
	s_wait_dscnt 0x6
	v_add_f32_e32 v96, v7, v15
	v_cndmask_b32_e64 v7, -v99, v99, s18
	v_add_f32_e32 v45, v9, v47
	v_cndmask_b32_e64 v9, -v97, v97, s18
	;; [unrolled: 2-line block ×3, first 2 shown]
	ds_bpermute_b32 v12, v3, v98
	ds_bpermute_b32 v16, v3, v100
	;; [unrolled: 1-line block ×3, first 2 shown]
	s_wait_dscnt 0x8
	v_add_f32_e32 v94, v5, v11
	ds_bpermute_b32 v11, v3, v18
	s_wait_dscnt 0x8
	v_add_f32_e32 v95, v6, v13
	ds_bpermute_b32 v13, v3, v102
	ds_bpermute_b32 v15, v3, v103
	s_wait_dscnt 0x9
	v_add_f32_e32 v97, v8, v40
	v_cndmask_b32_e64 v5, -v17, v17, s18
	v_cndmask_b32_e64 v6, -v98, v98, s18
	ds_bpermute_b32 v40, v3, v105
	s_wait_dscnt 0x9
	v_add_f32_e32 v46, v9, v46
	v_cndmask_b32_e64 v8, -v100, v100, s18
	v_cndmask_b32_e64 v9, -v101, v101, s18
	ds_bpermute_b32 v17, v3, v104
	s_wait_dscnt 0x9
	v_add_f32_e32 v98, v5, v10
	s_wait_dscnt 0x8
	v_add_f32_e32 v100, v7, v14
	v_cndmask_b32_e64 v5, -v18, v18, s18
	v_cndmask_b32_e64 v7, -v103, v103, s18
	ds_bpermute_b32 v10, v3, v19
	s_wait_dscnt 0x8
	v_add_f32_e32 v99, v6, v12
	v_cndmask_b32_e64 v6, -v102, v102, s18
	ds_bpermute_b32 v12, v3, v106
	ds_bpermute_b32 v14, v3, v107
	;; [unrolled: 1-line block ×3, first 2 shown]
	s_wait_dscnt 0xa
	v_add_f32_e32 v101, v8, v16
	s_wait_dscnt 0x9
	v_add_f32_e32 v47, v9, v47
	v_cndmask_b32_e64 v8, -v104, v104, s18
	v_cndmask_b32_e64 v9, -v105, v105, s18
	ds_bpermute_b32 v16, v3, v108
	s_wait_dscnt 0x8
	v_dual_add_f32 v102, v5, v11 :: v_dual_add_f32 v103, v6, v13
	s_wait_dscnt 0x7
	v_add_f32_e32 v104, v7, v15
	ds_bpermute_b32 v11, v3, v20
	ds_bpermute_b32 v13, v3, v110
	;; [unrolled: 1-line block ×3, first 2 shown]
	s_wait_dscnt 0x9
	v_add_f32_e32 v48, v9, v40
	v_cndmask_b32_e64 v5, -v19, v19, s18
	v_cndmask_b32_e64 v6, -v106, v106, s18
	;; [unrolled: 1-line block ×4, first 2 shown]
	ds_bpermute_b32 v19, v3, v113
	s_wait_dscnt 0x8
	v_add_f32_e32 v106, v5, v10
	v_cndmask_b32_e64 v5, -v20, v20, s18
	v_add_f32_e32 v105, v8, v17
	v_cndmask_b32_e64 v8, -v108, v108, s18
	ds_bpermute_b32 v17, v3, v112
	s_wait_dscnt 0x7
	v_add_f32_e32 v108, v7, v14
	s_wait_dscnt 0x6
	v_add_f32_e32 v49, v9, v18
	v_cndmask_b32_e64 v7, -v111, v111, s18
	v_add_f32_e32 v107, v6, v12
	v_cndmask_b32_e64 v6, -v110, v110, s18
	ds_bpermute_b32 v10, v3, v21
	ds_bpermute_b32 v12, v3, v114
	;; [unrolled: 1-line block ×4, first 2 shown]
	v_cndmask_b32_e64 v9, -v113, v113, s18
	s_wait_dscnt 0x9
	v_add_f32_e32 v109, v8, v16
	v_cndmask_b32_e64 v8, -v112, v112, s18
	ds_bpermute_b32 v16, v3, v116
	s_wait_dscnt 0x9
	v_add_f32_e32 v110, v5, v11
	s_wait_dscnt 0x7
	v_add_f32_e32 v112, v7, v15
	v_cndmask_b32_e64 v5, -v21, v21, s18
	v_add_f32_e32 v111, v6, v13
	ds_bpermute_b32 v11, v3, v22
	ds_bpermute_b32 v13, v3, v118
	;; [unrolled: 1-line block ×3, first 2 shown]
	s_wait_dscnt 0x9
	v_add_f32_e32 v50, v9, v19
	v_cndmask_b32_e64 v6, -v114, v114, s18
	v_cndmask_b32_e64 v7, -v115, v115, s18
	;; [unrolled: 1-line block ×3, first 2 shown]
	ds_bpermute_b32 v19, v3, v121
	s_wait_dscnt 0x8
	v_add_f32_e32 v114, v5, v10
	v_cndmask_b32_e64 v5, -v22, v22, s18
	v_add_f32_e32 v113, v8, v17
	v_cndmask_b32_e64 v8, -v116, v116, s18
	ds_bpermute_b32 v17, v3, v120
	s_wait_dscnt 0x7
	v_add_f32_e32 v116, v7, v14
	s_wait_dscnt 0x6
	v_add_f32_e32 v51, v9, v18
	v_cndmask_b32_e64 v7, -v119, v119, s18
	v_cndmask_b32_e64 v9, -v121, v121, s18
	v_add_f32_e32 v115, v6, v12
	v_cndmask_b32_e64 v6, -v118, v118, s18
	ds_bpermute_b32 v10, v3, v23
	ds_bpermute_b32 v12, v3, v122
	;; [unrolled: 1-line block ×4, first 2 shown]
	s_wait_dscnt 0x8
	v_add_f32_e32 v118, v5, v11
	v_cndmask_b32_e64 v5, -v23, v23, s18
	v_add_f32_e32 v117, v8, v16
	v_cndmask_b32_e64 v8, -v120, v120, s18
	ds_bpermute_b32 v16, v3, v124
	s_wait_dscnt 0x7
	v_add_f32_e32 v120, v7, v15
	v_cndmask_b32_e64 v7, -v123, v123, s18
	v_add_f32_e32 v119, v6, v13
	ds_bpermute_b32 v13, v3, v126
	s_wait_dscnt 0x7
	v_add_f32_e32 v52, v9, v19
	v_cndmask_b32_e64 v6, -v122, v122, s18
	v_cndmask_b32_e64 v9, -v125, v125, s18
	ds_bpermute_b32 v19, v3, v131
	ds_bpermute_b32 v11, v3, v24
	ds_bpermute_b32 v15, v3, v127
	s_wait_dscnt 0x8
	v_add_f32_e32 v122, v5, v10
	v_cndmask_b32_e64 v5, -v24, v24, s18
	v_add_f32_e32 v121, v8, v17
	v_cndmask_b32_e64 v8, -v124, v124, s18
	ds_bpermute_b32 v17, v3, v129
	s_wait_dscnt 0x7
	v_add_f32_e32 v53, v9, v18
	v_cndmask_b32_e64 v9, -v131, v131, s18
	v_add_f32_e32 v123, v6, v12
	v_cndmask_b32_e64 v6, -v126, v126, s18
	ds_bpermute_b32 v18, v3, v152
	s_wait_dscnt 0x7
	v_add_f32_e32 v124, v7, v14
	v_cndmask_b32_e64 v7, -v127, v127, s18
	ds_bpermute_b32 v10, v3, v25
	s_wait_dscnt 0x6
	v_add_f32_e32 v127, v6, v13
	ds_bpermute_b32 v13, v3, v35
	v_add_f32_e32 v125, v8, v16
	ds_bpermute_b32 v16, v3, v151
	v_cndmask_b32_e64 v8, -v129, v129, s18
	s_wait_dscnt 0x7
	v_add_f32_e32 v54, v9, v19
	v_cndmask_b32_e64 v9, -v152, v152, s18
	ds_bpermute_b32 v12, v3, v149
	ds_bpermute_b32 v19, v3, v29
	;; [unrolled: 1-line block ×3, first 2 shown]
	s_wait_dscnt 0x9
	v_add_f32_e32 v126, v5, v11
	v_cndmask_b32_e64 v5, -v25, v25, s18
	v_cndmask_b32_e64 v6, -v149, v149, s18
	ds_bpermute_b32 v11, v3, v27
	s_wait_dscnt 0x7
	v_add_f32_e32 v55, v9, v18
	v_cndmask_b32_e64 v18, -v29, v29, s18
	v_add_f32_e32 v131, v8, v17
	v_cndmask_b32_e64 v8, -v151, v151, s18
	ds_bpermute_b32 v17, v3, v28
	ds_bpermute_b32 v9, v3, v179
	s_wait_dscnt 0x6
	v_add_f32_e32 v152, v8, v16
	ds_bpermute_b32 v8, v3, v2
	v_cndmask_b32_e64 v16, -v28, v28, s18
	v_add_f32_e32 v129, v7, v15
	ds_bpermute_b32 v15, v3, v56
	v_cndmask_b32_e64 v2, -v2, v2, s18
	;; [unrolled: 3-line block ×3, first 2 shown]
	s_wait_dscnt 0x8
	v_add_f32_e32 v150, v6, v12
	v_cndmask_b32_e64 v6, -v35, v35, s18
	v_cndmask_b32_e64 v5, -v27, v27, s18
	ds_bpermute_b32 v12, v3, v177
	s_wait_dscnt 0x8
	v_add_f32_e32 v40, v18, v19
	v_add_f32_e32 v174, v6, v13
	v_cndmask_b32_e64 v6, -v180, v180, s18
	ds_bpermute_b32 v13, v3, v155
	s_wait_dscnt 0x8
	v_add_f32_e32 v151, v7, v14
	v_cndmask_b32_e64 v7, -v56, v56, s18
	ds_bpermute_b32 v14, v3, v181
	s_wait_dscnt 0x5
	v_add_f32_e32 v56, v2, v8
	v_xor_b32_e32 v2, 16, v1
	v_add_f32_e32 v173, v5, v11
	v_cndmask_b32_e64 v5, -v179, v179, s18
	ds_bpermute_b32 v11, v3, v154
	v_add_f32_e32 v176, v16, v17
	s_wait_dscnt 0x4
	v_add_f32_e32 v58, v6, v10
	ds_bpermute_b32 v10, v3, v170
	v_add_f32_e32 v175, v7, v15
	ds_bpermute_b32 v7, v3, v153
	v_cmp_gt_i32_e64 s19, 32, v2
	v_cndmask_b32_e64 v15, -v177, v177, s18
	v_cndmask_b32_e64 v16, -v181, v181, s18
	v_add_f32_e32 v57, v5, v9
	v_cndmask_b32_e64 v5, -v153, v153, s18
	s_wait_alu 0xf1ff
	v_cndmask_b32_e64 v1, v1, v2, s19
	v_cndmask_b32_e64 v8, -v155, v155, s18
	v_cndmask_b32_e64 v6, -v154, v154, s18
	;; [unrolled: 1-line block ×3, first 2 shown]
	s_wait_dscnt 0x3
	v_dual_add_f32 v60, v16, v14 :: v_dual_lshlrev_b32 v153, 2, v1
	v_add_f32_e32 v62, v8, v13
	v_cndmask_b32_e64 v1, -v170, v170, s18
	ds_bpermute_b32 v9, v3, v178
	ds_bpermute_b32 v8, v153, v26
	;; [unrolled: 1-line block ×3, first 2 shown]
	v_add_f32_e32 v59, v15, v12
	ds_bpermute_b32 v12, v3, v171
	ds_bpermute_b32 v15, v153, v156
	s_wait_dscnt 0x5
	v_add_f32_e32 v177, v5, v7
	v_and_b32_e32 v7, 16, v0
	ds_bpermute_b32 v19, v153, v160
	v_cndmask_b32_e64 v5, -v171, v171, s18
	ds_bpermute_b32 v17, v153, v158
	v_add_f32_e32 v61, v6, v11
	v_cndmask_b32_e64 v6, -v172, v172, s18
	v_cmp_eq_u32_e64 s18, 0, v7
	v_add_f32_e32 v154, v1, v10
	ds_bpermute_b32 v3, v3, v172
	s_wait_alu 0xf1ff
	v_cndmask_b32_e64 v1, -v26, v26, s18
	v_cndmask_b32_e64 v10, -v156, v156, s18
	s_wait_dscnt 0x7
	v_add_f32_e32 v171, v2, v9
	v_cndmask_b32_e64 v2, -v133, v133, s18
	v_cndmask_b32_e64 v9, -v148, v148, s18
	s_wait_dscnt 0x4
	v_add_f32_e32 v155, v5, v12
	v_add_f32_e32 v5, v1, v8
	s_wait_dscnt 0x3
	v_add_f32_e32 v1, v10, v15
	v_cndmask_b32_e64 v10, -v160, v160, s18
	v_add_f32_e32 v8, v9, v14
	v_cndmask_b32_e64 v9, -v159, v159, s18
	s_wait_dscnt 0x2
	s_delay_alu instid0(VALU_DEP_3)
	v_add_f32_e32 v10, v10, v19
	ds_bpermute_b32 v11, v153, v133
	ds_bpermute_b32 v13, v153, v147
	s_wait_dscnt 0x2
	v_add_f32_e32 v170, v6, v3
	v_cndmask_b32_e64 v3, -v147, v147, s18
	ds_bpermute_b32 v12, v153, v4
	ds_bpermute_b32 v16, v153, v157
	;; [unrolled: 1-line block ×15, first 2 shown]
	v_cndmask_b32_e64 v19, -v164, v164, s18
	s_wait_dscnt 0xf
	v_dual_add_f32 v6, v2, v11 :: v_dual_add_f32 v7, v3, v13
	ds_bpermute_b32 v11, v153, v30
	ds_bpermute_b32 v13, v153, v161
	v_cndmask_b32_e64 v2, -v4, v4, s18
	v_cndmask_b32_e64 v3, -v157, v157, s18
	;; [unrolled: 1-line block ×3, first 2 shown]
	ds_bpermute_b32 v35, v153, v66
	s_wait_dscnt 0xd
	v_dual_add_f32 v9, v9, v18 :: v_dual_add_f32 v2, v2, v12
	v_add_f32_e32 v3, v3, v16
	v_cndmask_b32_e64 v12, -v30, v30, s18
	v_cndmask_b32_e64 v16, -v161, v161, s18
	v_add_f32_e32 v4, v4, v17
	v_cndmask_b32_e64 v17, -v162, v162, s18
	ds_bpermute_b32 v30, v153, v169
	v_cndmask_b32_e64 v18, -v163, v163, s18
	ds_bpermute_b32 v128, v153, v89
	ds_bpermute_b32 v130, v153, v120
	;; [unrolled: 1-line block ×5, first 2 shown]
	s_wait_dscnt 0x8
	v_add_f32_e32 v11, v12, v11
	s_wait_dscnt 0x7
	v_add_f32_e32 v12, v16, v13
	v_cndmask_b32_e64 v16, -v31, v31, s18
	v_add_f32_e32 v13, v17, v14
	v_cndmask_b32_e64 v17, -v165, v165, s18
	v_dual_add_f32 v14, v18, v15 :: v_dual_add_f32 v15, v19, v20
	s_delay_alu instid0(VALU_DEP_4)
	v_add_f32_e32 v16, v16, v21
	v_cndmask_b32_e64 v21, -v32, v32, s18
	ds_bpermute_b32 v32, v153, v33
	v_cndmask_b32_e64 v18, -v166, v166, s18
	v_cndmask_b32_e64 v19, -v167, v167, s18
	;; [unrolled: 1-line block ×3, first 2 shown]
	v_add_f32_e32 v17, v17, v22
	v_cndmask_b32_e64 v22, -v63, v63, s18
	s_delay_alu instid0(VALU_DEP_4) | instskip(NEXT) | instid1(VALU_DEP_4)
	v_dual_add_f32 v18, v18, v23 :: v_dual_add_f32 v19, v19, v24
	v_add_f32_e32 v20, v20, v25
	v_cndmask_b32_e64 v23, -v64, v64, s18
	v_cndmask_b32_e64 v24, -v65, v65, s18
	;; [unrolled: 1-line block ×3, first 2 shown]
	ds_bpermute_b32 v63, v153, v67
	v_dual_add_f32 v25, v21, v26 :: v_dual_add_f32 v26, v22, v27
	v_cndmask_b32_e64 v22, -v33, v33, s18
	ds_bpermute_b32 v65, v153, v69
	s_wait_dscnt 0x8
	v_add_f32_e32 v21, v31, v30
	ds_bpermute_b32 v31, v153, v34
	ds_bpermute_b32 v33, v153, v70
	s_wait_dscnt 0x4
	v_add_f32_e32 v22, v22, v32
	v_cndmask_b32_e64 v32, -v34, v34, s18
	v_cndmask_b32_e64 v34, -v70, v70, s18
	ds_bpermute_b32 v70, v153, v75
	v_dual_add_f32 v27, v23, v28 :: v_dual_add_f32 v28, v24, v29
	v_cndmask_b32_e64 v24, -v67, v67, s18
	ds_bpermute_b32 v67, v153, v72
	v_cndmask_b32_e64 v23, -v66, v66, s18
	v_cndmask_b32_e64 v30, -v69, v69, s18
	ds_bpermute_b32 v66, v153, v71
	ds_bpermute_b32 v64, v153, v68
	s_wait_dscnt 0x7
	v_add_f32_e32 v24, v24, v63
	v_cndmask_b32_e64 v63, -v72, v72, s18
	ds_bpermute_b32 v72, v153, v77
	v_cndmask_b32_e64 v29, -v68, v68, s18
	s_wait_dscnt 0x7
	v_add_f32_e32 v30, v30, v65
	ds_bpermute_b32 v65, v153, v36
	s_wait_dscnt 0x6
	v_dual_add_f32 v31, v32, v31 :: v_dual_add_f32 v32, v34, v33
	ds_bpermute_b32 v68, v153, v73
	v_cndmask_b32_e64 v36, -v36, v36, s18
	ds_bpermute_b32 v69, v153, v74
	v_cndmask_b32_e64 v57, -v57, v57, s18
	;; [unrolled: 2-line block ×3, first 2 shown]
	ds_bpermute_b32 v135, v153, v56
	s_wait_dscnt 0x8
	v_add_f32_e32 v34, v63, v67
	v_cndmask_b32_e64 v67, -v77, v77, s18
	ds_bpermute_b32 v77, v153, v42
	v_add_f32_e32 v23, v23, v35
	v_cndmask_b32_e64 v35, -v71, v71, s18
	ds_bpermute_b32 v71, v153, v76
	v_cndmask_b32_e64 v63, -v74, v74, s18
	ds_bpermute_b32 v74, v153, v79
	ds_bpermute_b32 v137, v153, v58
	s_wait_dscnt 0xb
	v_add_f32_e32 v33, v35, v66
	v_cndmask_b32_e64 v66, -v76, v76, s18
	s_wait_dscnt 0x8
	v_add_f32_e32 v36, v36, v65
	ds_bpermute_b32 v76, v153, v81
	ds_bpermute_b32 v134, v153, v176
	v_cndmask_b32_e64 v58, -v58, v58, s18
	s_wait_dscnt 0x8
	v_add_f32_e32 v63, v63, v69
	v_cndmask_b32_e64 v69, -v78, v78, s18
	ds_bpermute_b32 v139, v153, v171
	ds_bpermute_b32 v140, v153, v170
	s_wait_dscnt 0x6
	v_add_f32_e32 v65, v66, v71
	v_cndmask_b32_e64 v71, -v80, v80, s18
	v_add_f32_e32 v29, v29, v64
	v_cndmask_b32_e64 v64, -v73, v73, s18
	ds_bpermute_b32 v73, v153, v78
	v_add_f32_e32 v66, v67, v72
	v_cndmask_b32_e64 v72, -v81, v81, s18
	ds_bpermute_b32 v81, v153, v85
	;; [unrolled: 3-line block ×3, first 2 shown]
	ds_bpermute_b32 v75, v153, v80
	v_cndmask_b32_e64 v41, -v41, v41, s18
	ds_bpermute_b32 v78, v153, v82
	v_add_f32_e32 v64, v64, v70
	v_cndmask_b32_e64 v70, -v79, v79, s18
	ds_bpermute_b32 v79, v153, v83
	ds_bpermute_b32 v80, v153, v84
	s_wait_dscnt 0x4
	v_add_f32_e32 v67, v41, v68
	v_dual_add_f32 v68, v69, v73 :: v_dual_add_f32 v69, v70, v74
	s_wait_dscnt 0x3
	v_dual_add_f32 v70, v71, v75 :: v_dual_add_f32 v71, v72, v76
	v_cndmask_b32_e64 v41, -v42, v42, s18
	v_cndmask_b32_e64 v42, -v82, v82, s18
	;; [unrolled: 1-line block ×4, first 2 shown]
	ds_bpermute_b32 v82, v153, v43
	v_cndmask_b32_e64 v75, -v84, v84, s18
	ds_bpermute_b32 v84, v153, v87
	ds_bpermute_b32 v85, v153, v88
	s_wait_dscnt 0x4
	v_add_f32_e32 v74, v74, v79
	v_add_f32_e32 v76, v76, v81
	v_cndmask_b32_e64 v79, -v88, v88, s18
	ds_bpermute_b32 v81, v153, v44
	ds_bpermute_b32 v88, v153, v92
	;; [unrolled: 1-line block ×3, first 2 shown]
	v_add_f32_e32 v72, v41, v77
	v_cndmask_b32_e64 v41, -v43, v43, s18
	s_wait_dscnt 0x6
	v_add_f32_e32 v75, v75, v80
	v_cndmask_b32_e64 v43, -v87, v87, s18
	v_cndmask_b32_e64 v80, -v89, v89, s18
	;; [unrolled: 1-line block ×3, first 2 shown]
	ds_bpermute_b32 v87, v153, v91
	ds_bpermute_b32 v89, v153, v93
	s_wait_dscnt 0x7
	v_add_f32_e32 v77, v41, v82
	v_cndmask_b32_e64 v82, -v92, v92, s18
	s_wait_dscnt 0x6
	v_add_f32_e32 v41, v43, v84
	v_add_f32_e32 v43, v80, v128
	v_cndmask_b32_e64 v80, -v91, v91, s18
	ds_bpermute_b32 v91, v153, v96
	ds_bpermute_b32 v84, v153, v45
	s_wait_dscnt 0x5
	v_dual_add_f32 v44, v44, v81 :: v_dual_add_f32 v81, v82, v88
	v_cndmask_b32_e64 v88, -v96, v96, s18
	v_add_f32_e32 v73, v42, v78
	v_cndmask_b32_e64 v42, -v86, v86, s18
	ds_bpermute_b32 v86, v153, v90
	v_cndmask_b32_e64 v45, -v45, v45, s18
	ds_bpermute_b32 v92, v153, v97
	ds_bpermute_b32 v96, v153, v100
	s_wait_dscnt 0x7
	v_add_f32_e32 v78, v42, v83
	v_add_f32_e32 v42, v79, v85
	ds_bpermute_b32 v85, v153, v94
	v_cndmask_b32_e64 v79, -v90, v90, s18
	v_cndmask_b32_e64 v83, -v93, v93, s18
	ds_bpermute_b32 v93, v153, v46
	ds_bpermute_b32 v90, v153, v95
	s_wait_dscnt 0x9
	v_add_f32_e32 v80, v80, v87
	v_cndmask_b32_e64 v87, -v95, v95, s18
	s_wait_dscnt 0x6
	v_dual_add_f32 v82, v83, v89 :: v_dual_add_f32 v83, v45, v84
	v_cndmask_b32_e64 v45, -v46, v46, s18
	v_cndmask_b32_e64 v46, -v98, v98, s18
	ds_bpermute_b32 v95, v153, v99
	v_cndmask_b32_e64 v89, -v97, v97, s18
	ds_bpermute_b32 v97, v153, v101
	s_wait_dscnt 0x7
	v_add_f32_e32 v79, v79, v86
	v_cndmask_b32_e64 v86, -v94, v94, s18
	ds_bpermute_b32 v94, v153, v98
	ds_bpermute_b32 v98, v153, v47
	;; [unrolled: 1-line block ×3, first 2 shown]
	s_wait_dscnt 0x7
	v_add_f32_e32 v84, v86, v85
	v_add_f32_e32 v86, v88, v91
	v_cndmask_b32_e64 v91, -v100, v100, s18
	ds_bpermute_b32 v100, v153, v103
	s_wait_dscnt 0x7
	v_add_f32_e32 v88, v45, v93
	v_cndmask_b32_e64 v45, -v47, v47, s18
	v_cndmask_b32_e64 v47, -v103, v103, s18
	v_add_f32_e32 v91, v91, v96
	v_cndmask_b32_e64 v96, -v105, v105, s18
	ds_bpermute_b32 v105, v153, v109
	ds_bpermute_b32 v103, v153, v107
	s_wait_dscnt 0x4
	v_add_f32_e32 v93, v45, v98
	s_wait_dscnt 0x2
	v_add_f32_e32 v45, v47, v100
	v_cndmask_b32_e64 v100, -v109, v109, s18
	v_add_f32_e32 v85, v87, v90
	v_add_f32_e32 v87, v89, v92
	v_cndmask_b32_e64 v90, -v99, v99, s18
	v_cndmask_b32_e64 v92, -v101, v101, s18
	ds_bpermute_b32 v99, v153, v102
	ds_bpermute_b32 v101, v153, v104
	v_add_f32_e32 v89, v46, v94
	v_add_f32_e32 v90, v90, v95
	v_cndmask_b32_e64 v95, -v104, v104, s18
	ds_bpermute_b32 v104, v153, v108
	v_add_f32_e32 v92, v92, v97
	v_cndmask_b32_e64 v46, -v102, v102, s18
	ds_bpermute_b32 v97, v153, v48
	ds_bpermute_b32 v102, v153, v106
	v_cndmask_b32_e64 v48, -v48, v48, s18
	ds_bpermute_b32 v109, v153, v113
	s_wait_dscnt 0x7
	v_add_f32_e32 v100, v100, v105
	v_cndmask_b32_e64 v105, -v113, v113, s18
	ds_bpermute_b32 v113, v153, v116
	s_wait_dscnt 0x6
	v_add_f32_e32 v94, v46, v99
	s_wait_dscnt 0x5
	v_add_f32_e32 v46, v95, v101
	v_cndmask_b32_e64 v95, -v106, v106, s18
	v_cndmask_b32_e64 v99, -v108, v108, s18
	ds_bpermute_b32 v106, v153, v110
	ds_bpermute_b32 v108, v153, v112
	;; [unrolled: 1-line block ×3, first 2 shown]
	v_cndmask_b32_e64 v49, -v49, v49, s18
	s_wait_dscnt 0x7
	v_add_f32_e32 v99, v99, v104
	v_cndmask_b32_e64 v104, -v112, v112, s18
	ds_bpermute_b32 v112, v153, v115
	s_wait_dscnt 0x6
	v_dual_add_f32 v48, v48, v97 :: v_dual_add_f32 v97, v95, v102
	v_cndmask_b32_e64 v95, -v110, v110, s18
	ds_bpermute_b32 v110, v153, v50
	s_wait_dscnt 0x4
	v_add_f32_e32 v102, v95, v106
	v_cndmask_b32_e64 v95, -v115, v115, s18
	s_wait_dscnt 0x3
	v_add_f32_e32 v104, v104, v108
	ds_bpermute_b32 v115, v153, v51
	s_wait_dscnt 0x2
	v_add_f32_e32 v108, v95, v112
	v_cndmask_b32_e64 v95, -v120, v120, s18
	v_add_f32_e32 v47, v96, v128
	v_cndmask_b32_e64 v96, -v107, v107, s18
	ds_bpermute_b32 v107, v153, v111
	ds_bpermute_b32 v128, v153, v117
	;; [unrolled: 1-line block ×3, first 2 shown]
	v_add_f32_e32 v98, v96, v103
	v_cndmask_b32_e64 v96, -v111, v111, s18
	ds_bpermute_b32 v111, v153, v114
	s_wait_dscnt 0x3
	v_add_f32_e32 v103, v96, v107
	v_cndmask_b32_e64 v96, -v116, v116, s18
	ds_bpermute_b32 v116, v153, v118
	v_add_f32_e32 v101, v49, v101
	v_cndmask_b32_e64 v49, -v50, v50, s18
	v_cndmask_b32_e64 v50, -v114, v114, s18
	;; [unrolled: 1-line block ×3, first 2 shown]
	ds_bpermute_b32 v117, v153, v119
	s_wait_dscnt 0x2
	v_dual_add_f32 v106, v49, v110 :: v_dual_add_f32 v107, v50, v111
	v_cndmask_b32_e64 v50, -v118, v118, s18
	v_add_f32_e32 v110, v114, v128
	v_cndmask_b32_e64 v49, -v51, v51, s18
	v_cndmask_b32_e64 v51, -v119, v119, s18
	ds_bpermute_b32 v128, v153, v150
	ds_bpermute_b32 v114, v153, v122
	;; [unrolled: 1-line block ×3, first 2 shown]
	v_add_f32_e32 v111, v49, v115
	ds_bpermute_b32 v119, v153, v124
	v_cndmask_b32_e64 v115, -v124, v124, s18
	ds_bpermute_b32 v124, v153, v131
	s_wait_dscnt 0x6
	v_add_f32_e32 v112, v50, v116
	v_cndmask_b32_e64 v116, -v125, v125, s18
	v_add_f32_e32 v105, v105, v109
	v_add_f32_e32 v109, v96, v113
	v_cndmask_b32_e64 v96, -v121, v121, s18
	ds_bpermute_b32 v113, v153, v52
	v_add_f32_e32 v50, v95, v130
	v_add_f32_e32 v116, v116, v120
	v_cndmask_b32_e64 v120, -v129, v129, s18
	s_wait_dscnt 0x6
	v_add_f32_e32 v49, v51, v117
	ds_bpermute_b32 v130, v153, v152
	v_add_f32_e32 v51, v96, v132
	v_cndmask_b32_e64 v96, -v123, v123, s18
	ds_bpermute_b32 v123, v153, v129
	ds_bpermute_b32 v121, v153, v126
	v_cndmask_b32_e64 v95, -v122, v122, s18
	ds_bpermute_b32 v122, v153, v127
	v_cndmask_b32_e64 v52, -v52, v52, s18
	;; [unrolled: 2-line block ×3, first 2 shown]
	v_cndmask_b32_e64 v125, -v131, v131, s18
	ds_bpermute_b32 v129, v153, v151
	s_wait_dscnt 0x6
	v_add_f32_e32 v52, v52, v113
	s_wait_dscnt 0x4
	v_add_f32_e32 v120, v120, v123
	ds_bpermute_b32 v123, v153, v173
	v_add_f32_e32 v113, v95, v114
	v_cndmask_b32_e64 v95, -v126, v126, s18
	v_add_f32_e32 v114, v96, v118
	v_cndmask_b32_e64 v96, -v127, v127, s18
	ds_bpermute_b32 v126, v153, v54
	ds_bpermute_b32 v127, v153, v149
	s_wait_dscnt 0x6
	v_add_f32_e32 v118, v95, v121
	v_cndmask_b32_e64 v121, -v152, v152, s18
	s_wait_dscnt 0x4
	v_add_f32_e32 v117, v53, v117
	v_cndmask_b32_e64 v53, -v54, v54, s18
	v_cndmask_b32_e64 v54, -v149, v149, s18
	;; [unrolled: 1-line block ×3, first 2 shown]
	v_add_f32_e32 v130, v121, v130
	ds_bpermute_b32 v121, v153, v40
	v_cndmask_b32_e64 v40, -v40, v40, s18
	v_add_f32_e32 v115, v115, v119
	v_add_f32_e32 v119, v96, v122
	ds_bpermute_b32 v122, v153, v55
	v_add_f32_e32 v128, v95, v128
	v_cndmask_b32_e64 v95, -v175, v175, s18
	v_cndmask_b32_e64 v96, -v151, v151, s18
	s_wait_dscnt 0x3
	v_add_f32_e32 v126, v53, v126
	v_cndmask_b32_e64 v53, -v55, v55, s18
	s_wait_dscnt 0x2
	v_add_f32_e32 v127, v54, v127
	v_cndmask_b32_e64 v54, -v173, v173, s18
	v_cndmask_b32_e64 v55, -v174, v174, s18
	s_delay_alu instid0(VALU_DEP_2)
	v_add_f32_e32 v132, v54, v123
	v_add_f32_e32 v54, v95, v133
	ds_bpermute_b32 v95, v153, v60
	ds_bpermute_b32 v123, v153, v61
	s_wait_dscnt 0x2
	v_add_f32_e32 v131, v53, v122
	v_cndmask_b32_e64 v122, -v56, v56, s18
	v_add_f32_e32 v56, v40, v121
	ds_bpermute_b32 v121, v153, v154
	v_add_f32_e32 v125, v125, v124
	ds_bpermute_b32 v124, v153, v174
	v_add_f32_e32 v133, v122, v135
	v_add_f32_e32 v135, v58, v137
	v_cndmask_b32_e64 v58, -v177, v177, s18
	v_add_f32_e32 v129, v96, v129
	v_cndmask_b32_e64 v96, -v176, v176, s18
	v_cndmask_b32_e64 v40, -v60, v60, s18
	ds_bpermute_b32 v122, v153, v155
	v_cndmask_b32_e64 v60, -v62, v62, s18
	s_wait_dscnt 0x1
	v_add_f32_e32 v53, v55, v124
	v_add_f32_e32 v55, v96, v134
	ds_bpermute_b32 v96, v153, v177
	ds_bpermute_b32 v124, v153, v62
	v_dual_add_f32 v134, v57, v136 :: v_dual_add_f32 v57, v40, v95
	v_cndmask_b32_e64 v40, -v61, v61, s18
	v_cndmask_b32_e64 v61, -v171, v171, s18
	v_and_b32_e32 v62, 7, v0
	v_lshrrev_b32_e32 v95, 3, v0
	s_delay_alu instid0(VALU_DEP_4) | instskip(NEXT) | instid1(VALU_DEP_4)
	v_dual_add_f32 v136, v59, v138 :: v_dual_add_f32 v59, v40, v123
	v_add_f32_e32 v137, v61, v139
	v_lshrrev_b32_e32 v40, 5, v0
	s_delay_alu instid0(VALU_DEP_4) | instskip(SKIP_2) | instid1(VALU_DEP_4)
	v_lshl_or_b32 v61, v62, 5, v95
	v_cndmask_b32_e64 v95, -v154, v154, s18
	v_cndmask_b32_e64 v123, -v170, v170, s18
	v_xor_b32_e32 v0, v40, v0
	s_delay_alu instid0(VALU_DEP_4) | instskip(NEXT) | instid1(VALU_DEP_4)
	v_xor_b32_e32 v40, v61, v62
	v_add_f32_e32 v138, v95, v121
	s_delay_alu instid0(VALU_DEP_4)
	v_add_f32_e32 v140, v123, v140
	s_wait_dscnt 0x1
	v_add_f32_e32 v58, v58, v96
	v_cndmask_b32_e64 v96, -v155, v155, s18
	s_wait_dscnt 0x0
	v_add_f32_e32 v60, v60, v124
	v_lshl_add_u32 v124, v0, 4, 0
	ds_store_b128 v124, v[5:8]
	ds_store_b128 v124, v[1:4] offset:4096
	ds_store_b128 v124, v[9:12] offset:8192
	;; [unrolled: 1-line block ×7, first 2 shown]
	v_add_f32_e32 v139, v96, v122
	v_lshl_add_u32 v96, v40, 4, 0
	s_wait_loadcnt_dscnt 0x0
	s_barrier_signal -1
	s_barrier_wait -1
	global_inv scope:SCOPE_SE
	ds_load_b128 v[141:144], v96
	ds_load_b128 v[147:150], v96 offset:4096
	ds_load_b128 v[151:154], v96 offset:8192
	;; [unrolled: 1-line block ×7, first 2 shown]
	s_wait_loadcnt_dscnt 0x0
	s_barrier_signal -1
	s_barrier_wait -1
	global_inv scope:SCOPE_SE
	ds_store_b128 v124, v[33:36]
	ds_store_b128 v124, v[63:66] offset:4096
	ds_store_b128 v124, v[67:70] offset:8192
	;; [unrolled: 1-line block ×7, first 2 shown]
	s_wait_loadcnt_dscnt 0x0
	s_barrier_signal -1
	s_barrier_wait -1
	global_inv scope:SCOPE_SE
	ds_load_b128 v[61:64], v96
	ds_load_b128 v[65:68], v96 offset:4096
	ds_load_b128 v[69:72], v96 offset:8192
	;; [unrolled: 1-line block ×7, first 2 shown]
	s_wait_loadcnt_dscnt 0x0
	s_barrier_signal -1
	ds_bpermute_b32 v32, v37, v141
	ds_bpermute_b32 v34, v37, v142
	;; [unrolled: 1-line block ×5, first 2 shown]
	v_cndmask_b32_e64 v33, -v141, v141, s1
	ds_bpermute_b32 v36, v37, v144
	s_barrier_wait -1
	s_wait_dscnt 0x0
	global_inv scope:SCOPE_SE
	ds_store_b128 v124, v[87:90]
	ds_store_b128 v124, v[91:94] offset:4096
	ds_store_b128 v124, v[45:48] offset:8192
	;; [unrolled: 1-line block ×7, first 2 shown]
	v_cndmask_b32_e64 v42, -v143, v143, s1
	v_cndmask_b32_e64 v44, -v147, v147, s1
	;; [unrolled: 1-line block ×3, first 2 shown]
	ds_bpermute_b32 v46, v37, v149
	ds_bpermute_b32 v47, v37, v150
	;; [unrolled: 1-line block ×5, first 2 shown]
	s_wait_loadcnt_dscnt 0x0
	s_barrier_signal -1
	v_add_f32_e32 v32, v33, v32
	v_cndmask_b32_e64 v33, -v142, v142, s1
	s_barrier_wait -1
	global_inv scope:SCOPE_SE
	ds_load_b128 v[85:88], v96
	ds_load_b128 v[183:186], v96 offset:4096
	ds_load_b128 v[187:190], v96 offset:8192
	;; [unrolled: 1-line block ×7, first 2 shown]
	s_wait_loadcnt_dscnt 0x0
	s_barrier_signal -1
	s_barrier_wait -1
	global_inv scope:SCOPE_SE
	v_dual_add_f32 v89, v33, v34 :: v_dual_add_f32 v90, v42, v35
	v_add_f32_e32 v34, v44, v40
	ds_store_b128 v124, v[113:116]
	ds_store_b128 v124, v[117:120] offset:4096
	ds_store_b128 v124, v[125:128] offset:8192
	;; [unrolled: 1-line block ×5, first 2 shown]
	ds_bpermute_b32 v44, v37, v154
	ds_bpermute_b32 v51, v37, v156
	;; [unrolled: 1-line block ×4, first 2 shown]
	v_add_f32_e32 v35, v45, v41
	ds_bpermute_b32 v45, v37, v155
	v_cndmask_b32_e64 v43, -v144, v144, s1
	v_cndmask_b32_e64 v40, -v150, v150, s1
	;; [unrolled: 1-line block ×4, first 2 shown]
	ds_bpermute_b32 v52, v37, v157
	v_add_f32_e32 v33, v43, v36
	v_cndmask_b32_e64 v36, -v149, v149, s1
	v_cndmask_b32_e64 v43, -v153, v153, s1
	v_add_f32_e32 v92, v40, v47
	v_add_f32_e32 v40, v42, v49
	v_cndmask_b32_e64 v42, -v154, v154, s1
	v_dual_add_f32 v91, v36, v46 :: v_dual_add_f32 v36, v41, v48
	v_add_f32_e32 v41, v43, v50
	v_cndmask_b32_e64 v43, -v155, v155, s1
	v_cndmask_b32_e64 v46, -v156, v156, s1
	;; [unrolled: 1-line block ×3, first 2 shown]
	ds_bpermute_b32 v49, v37, v159
	ds_bpermute_b32 v54, v37, v161
	;; [unrolled: 1-line block ×4, first 2 shown]
	s_wait_dscnt 0x5
	v_dual_add_f32 v93, v42, v44 :: v_dual_add_f32 v94, v43, v45
	v_add_f32_e32 v42, v46, v51
	ds_store_b128 v124, v[57:60] offset:24576
	ds_store_b128 v124, v[137:140] offset:28672
	v_add_f32_e32 v44, v48, v53
	ds_bpermute_b32 v53, v37, v165
	ds_bpermute_b32 v58, v37, v167
	v_cndmask_b32_e64 v47, -v157, v157, s1
	v_cndmask_b32_e64 v45, -v159, v159, s1
	;; [unrolled: 1-line block ×3, first 2 shown]
	ds_bpermute_b32 v57, v37, v166
	ds_bpermute_b32 v59, v37, v168
	s_wait_dscnt 0xa
	v_add_f32_e32 v43, v47, v52
	v_cndmask_b32_e64 v47, -v161, v161, s1
	ds_bpermute_b32 v52, v37, v164
	v_cndmask_b32_e64 v46, -v160, v160, s1
	v_cndmask_b32_e64 v48, -v162, v162, s1
	ds_bpermute_b32 v102, v37, v172
	s_wait_dscnt 0xb
	v_add_f32_e32 v95, v45, v49
	s_wait_dscnt 0xa
	v_add_f32_e32 v45, v47, v54
	;; [unrolled: 2-line block ×3, first 2 shown]
	v_cndmask_b32_e64 v49, -v165, v165, s1
	v_cndmask_b32_e64 v51, -v167, v167, s1
	ds_bpermute_b32 v56, v37, v170
	ds_bpermute_b32 v60, v37, v171
	;; [unrolled: 1-line block ×3, first 2 shown]
	s_wait_dscnt 0xb
	v_dual_add_f32 v97, v46, v50 :: v_dual_add_f32 v46, v48, v55
	ds_bpermute_b32 v55, v37, v169
	ds_bpermute_b32 v106, v37, v64
	s_wait_dscnt 0xa
	v_add_f32_e32 v99, v49, v53
	s_wait_dscnt 0x9
	v_add_f32_e32 v49, v51, v58
	ds_bpermute_b32 v58, v37, v174
	v_cndmask_b32_e64 v48, -v164, v164, s1
	v_cndmask_b32_e64 v50, -v166, v166, s1
	;; [unrolled: 1-line block ×3, first 2 shown]
	ds_bpermute_b32 v103, v37, v173
	ds_bpermute_b32 v105, v37, v63
	s_wait_dscnt 0x9
	v_add_f32_e32 v98, v48, v52
	v_add_f32_e32 v48, v50, v57
	v_add_f32_e32 v50, v54, v59
	v_cndmask_b32_e64 v52, -v170, v170, s1
	v_cndmask_b32_e64 v54, -v172, v172, s1
	ds_bpermute_b32 v59, v37, v61
	v_cndmask_b32_e64 v51, -v169, v169, s1
	v_cndmask_b32_e64 v53, -v171, v171, s1
	s_wait_dscnt 0x8
	v_dual_add_f32 v101, v52, v56 :: v_dual_add_f32 v52, v54, v102
	v_cndmask_b32_e64 v54, -v174, v174, s1
	v_cndmask_b32_e64 v57, -v173, v173, s1
	s_wait_dscnt 0x5
	v_add_f32_e32 v100, v51, v55
	v_cndmask_b32_e64 v56, -v62, v62, s1
	ds_bpermute_b32 v62, v37, v66
	s_wait_dscnt 0x4
	v_add_f32_e32 v102, v54, v58
	v_cndmask_b32_e64 v58, -v66, v66, s1
	ds_bpermute_b32 v66, v37, v70
	v_add_f32_e32 v51, v53, v60
	v_cndmask_b32_e64 v60, -v64, v64, s1
	v_cndmask_b32_e64 v55, -v61, v61, s1
	ds_bpermute_b32 v61, v37, v65
	ds_bpermute_b32 v64, v37, v68
	v_add_f32_e32 v54, v56, v104
	v_add_f32_e32 v56, v60, v106
	v_cndmask_b32_e64 v60, -v68, v68, s1
	ds_bpermute_b32 v68, v37, v72
	s_wait_dscnt 0x7
	v_add_f32_e32 v53, v57, v103
	v_cndmask_b32_e64 v57, -v63, v63, s1
	ds_bpermute_b32 v63, v37, v67
	ds_bpermute_b32 v107, v37, v69
	ds_bpermute_b32 v108, v37, v74
	s_wait_dscnt 0x8
	v_add_f32_e32 v103, v55, v59
	v_add_f32_e32 v55, v57, v105
	v_cndmask_b32_e64 v57, -v65, v65, s1
	v_cndmask_b32_e64 v59, -v67, v67, s1
	;; [unrolled: 1-line block ×3, first 2 shown]
	ds_bpermute_b32 v67, v37, v71
	ds_bpermute_b32 v69, v37, v73
	;; [unrolled: 1-line block ×4, first 2 shown]
	s_wait_dscnt 0x9
	v_add_f32_e32 v104, v57, v61
	v_cndmask_b32_e64 v61, -v71, v71, s1
	ds_bpermute_b32 v71, v37, v77
	ds_bpermute_b32 v123, v37, v194
	;; [unrolled: 1-line block ×6, first 2 shown]
	s_wait_dscnt 0xc
	v_add_f32_e32 v57, v59, v63
	v_cndmask_b32_e64 v63, -v73, v73, s1
	s_wait_dscnt 0xb
	v_add_f32_e32 v59, v65, v107
	ds_bpermute_b32 v65, v37, v75
	ds_bpermute_b32 v73, v37, v79
	s_wait_loadcnt_dscnt 0x0
	s_barrier_signal -1
	s_barrier_wait -1
	v_add_f32_e32 v107, v61, v67
	v_add_f32_e32 v61, v63, v69
	v_cndmask_b32_e64 v63, -v75, v75, s1
	ds_bpermute_b32 v75, v37, v82
	v_dual_add_f32 v105, v58, v62 :: v_dual_add_f32 v58, v60, v64
	v_cndmask_b32_e64 v60, -v70, v70, s1
	v_cndmask_b32_e64 v62, -v72, v72, s1
	ds_bpermute_b32 v70, v37, v76
	ds_bpermute_b32 v72, v37, v78
	v_cndmask_b32_e64 v64, -v74, v74, s1
	v_add_f32_e32 v106, v60, v66
	v_add_f32_e32 v60, v62, v68
	v_cndmask_b32_e64 v66, -v77, v77, s1
	v_cndmask_b32_e64 v67, -v78, v78, s1
	v_add_f32_e32 v62, v64, v108
	v_cndmask_b32_e64 v64, -v76, v76, s1
	ds_bpermute_b32 v69, v37, v80
	ds_bpermute_b32 v74, v37, v81
	;; [unrolled: 1-line block ×4, first 2 shown]
	v_cndmask_b32_e64 v68, -v79, v79, s1
	v_dual_add_f32 v108, v63, v65 :: v_dual_add_f32 v63, v66, v71
	v_cndmask_b32_e64 v66, -v80, v80, s1
	ds_bpermute_b32 v78, v37, v177
	ds_bpermute_b32 v79, v37, v178
	;; [unrolled: 1-line block ×3, first 2 shown]
	s_wait_dscnt 0x7
	v_dual_add_f32 v109, v64, v70 :: v_dual_add_f32 v64, v67, v72
	ds_bpermute_b32 v72, v37, v175
	v_cndmask_b32_e64 v67, -v81, v81, s1
	v_cndmask_b32_e64 v70, -v83, v83, s1
	;; [unrolled: 1-line block ×3, first 2 shown]
	ds_bpermute_b32 v83, v37, v86
	v_add_f32_e32 v65, v68, v73
	v_cndmask_b32_e64 v68, -v82, v82, s1
	s_wait_dscnt 0x8
	v_add_f32_e32 v110, v66, v69
	v_cndmask_b32_e64 v69, -v175, v175, s1
	ds_bpermute_b32 v81, v37, v182
	s_wait_dscnt 0x8
	v_dual_add_f32 v111, v67, v74 :: v_dual_add_f32 v66, v68, v75
	s_wait_dscnt 0x6
	v_dual_add_f32 v67, v70, v76 :: v_dual_add_f32 v68, v71, v77
	v_cndmask_b32_e64 v71, -v177, v177, s1
	v_cndmask_b32_e64 v75, -v179, v179, s1
	ds_bpermute_b32 v76, v37, v180
	ds_bpermute_b32 v73, v37, v176
	v_cndmask_b32_e64 v70, -v176, v176, s1
	v_cndmask_b32_e64 v74, -v178, v178, s1
	s_wait_dscnt 0x4
	v_dual_add_f32 v112, v69, v72 :: v_dual_add_f32 v69, v71, v78
	v_add_f32_e32 v71, v75, v80
	ds_bpermute_b32 v80, v37, v88
	v_cndmask_b32_e64 v72, -v180, v180, s1
	ds_bpermute_b32 v77, v37, v181
	ds_bpermute_b32 v82, v37, v85
	v_cndmask_b32_e64 v75, -v85, v85, s1
	ds_bpermute_b32 v85, v37, v184
	v_cndmask_b32_e64 v78, -v86, v86, s1
	ds_bpermute_b32 v84, v37, v183
	ds_bpermute_b32 v86, v37, v185
	s_wait_dscnt 0x0
	global_inv scope:SCOPE_SE
	ds_load_b128 v[130:133], v96
	ds_load_b128 v[134:137], v96 offset:4096
	ds_load_b128 v[20:23], v96 offset:8192
	;; [unrolled: 1-line block ×3, first 2 shown]
	ds_bpermute_b32 v126, v37, v197
	ds_bpermute_b32 v128, v37, v199
	v_add_f32_e32 v114, v72, v76
	v_cndmask_b32_e64 v76, -v88, v88, s1
	ds_bpermute_b32 v88, v37, v189
	ds_bpermute_b32 v129, v37, v200
	;; [unrolled: 1-line block ×3, first 2 shown]
	v_cndmask_b32_e64 v30, -v30, v30, s1
	ds_bpermute_b32 v140, v37, v28
	v_add_f32_e32 v117, v76, v80
	v_cndmask_b32_e64 v80, -v188, v188, s1
	v_add_f32_e32 v113, v70, v73
	v_add_f32_e32 v70, v74, v79
	v_cndmask_b32_e64 v74, -v182, v182, s1
	ds_bpermute_b32 v79, v37, v87
	v_cndmask_b32_e64 v73, -v181, v181, s1
	v_cndmask_b32_e64 v28, -v28, v28, s1
	;; [unrolled: 1-line block ×3, first 2 shown]
	v_add_f32_e32 v72, v74, v81
	v_add_f32_e32 v74, v78, v83
	ds_bpermute_b32 v83, v37, v187
	v_cndmask_b32_e64 v78, -v184, v184, s1
	v_add_f32_e32 v115, v73, v77
	v_cndmask_b32_e64 v77, -v183, v183, s1
	v_cndmask_b32_e64 v81, -v185, v185, s1
	ds_bpermute_b32 v143, v37, v25
	v_add_f32_e32 v76, v78, v85
	ds_bpermute_b32 v85, v37, v191
	v_add_f32_e32 v73, v75, v82
	v_cndmask_b32_e64 v75, -v87, v87, s1
	ds_bpermute_b32 v82, v37, v186
	ds_bpermute_b32 v87, v37, v188
	v_cndmask_b32_e64 v78, -v186, v186, s1
	v_add_f32_e32 v30, v30, v142
	s_wait_dscnt 0x5
	v_dual_add_f32 v116, v75, v79 :: v_dual_add_f32 v75, v77, v84
	v_add_f32_e32 v77, v81, v86
	v_cndmask_b32_e64 v79, -v187, v187, s1
	v_cndmask_b32_e64 v81, -v189, v189, s1
	ds_bpermute_b32 v86, v37, v192
	v_cndmask_b32_e64 v84, -v190, v190, s1
	v_cndmask_b32_e64 v25, -v25, v25, s1
	s_wait_dscnt 0x5
	v_add_f32_e32 v119, v79, v83
	v_add_f32_e32 v79, v81, v88
	ds_bpermute_b32 v88, v37, v196
	v_cndmask_b32_e64 v81, -v191, v191, s1
	v_cndmask_b32_e64 v83, -v193, v193, s1
	ds_bpermute_b32 v142, v37, v137
	ds_bpermute_b32 v138, v37, v201
	;; [unrolled: 1-line block ×3, first 2 shown]
	s_wait_dscnt 0x6
	v_add_f32_e32 v118, v78, v82
	s_wait_dscnt 0x5
	v_add_f32_e32 v78, v80, v87
	v_add_f32_e32 v80, v84, v120
	v_cndmask_b32_e64 v82, -v192, v192, s1
	v_cndmask_b32_e64 v84, -v194, v194, s1
	;; [unrolled: 1-line block ×3, first 2 shown]
	v_dual_add_f32 v120, v81, v85 :: v_dual_add_f32 v81, v83, v122
	v_cndmask_b32_e64 v85, -v197, v197, s1
	s_wait_dscnt 0x4
	v_dual_add_f32 v121, v82, v86 :: v_dual_add_f32 v28, v28, v140
	v_dual_add_f32 v82, v84, v123 :: v_dual_add_f32 v83, v87, v125
	v_cndmask_b32_e64 v84, -v196, v196, s1
	v_cndmask_b32_e64 v86, -v198, v198, s1
	;; [unrolled: 1-line block ×3, first 2 shown]
	ds_bpermute_b32 v145, v37, v27
	s_wait_dscnt 0x4
	v_dual_add_f32 v29, v29, v141 :: v_dual_add_f32 v122, v84, v88
	v_add_f32_e32 v84, v86, v127
	v_cndmask_b32_e64 v88, -v202, v202, s1
	ds_bpermute_b32 v127, v37, v31
	v_cndmask_b32_e64 v27, -v27, v27, s1
	v_add_f32_e32 v123, v85, v126
	ds_bpermute_b32 v141, v37, v136
	v_add_f32_e32 v85, v87, v128
	ds_bpermute_b32 v128, v37, v24
	;; [unrolled: 2-line block ×3, first 2 shown]
	ds_bpermute_b32 v139, v37, v133
	v_cndmask_b32_e64 v125, -v200, v200, s1
	v_cndmask_b32_e64 v87, -v201, v201, s1
	;; [unrolled: 1-line block ×5, first 2 shown]
	s_wait_dscnt 0x7
	v_dual_add_f32 v86, v125, v129 :: v_dual_add_f32 v125, v87, v138
	ds_bpermute_b32 v87, v37, v130
	ds_load_b128 v[16:19], v96 offset:16384
	ds_load_b128 v[8:11], v96 offset:20480
	;; [unrolled: 1-line block ×4, first 2 shown]
	ds_bpermute_b32 v138, v37, v132
	ds_bpermute_b32 v140, v37, v134
	s_wait_dscnt 0xb
	v_add_f32_e32 v127, v31, v127
	v_cndmask_b32_e64 v31, -v131, v131, s1
	s_wait_loadcnt_dscnt 0x0
	s_barrier_signal -1
	s_barrier_wait -1
	v_dual_add_f32 v129, v24, v128 :: v_dual_add_f32 v24, v25, v143
	v_dual_add_f32 v25, v26, v144 :: v_dual_add_f32 v26, v27, v145
	v_cndmask_b32_e64 v27, -v130, v130, s1
	v_cndmask_b32_e64 v130, -v133, v133, s1
	v_add_f32_e32 v133, v31, v88
	v_cndmask_b32_e64 v128, -v132, v132, s1
	v_cndmask_b32_e64 v132, -v134, v134, s1
	ds_bpermute_b32 v134, v37, v135
	v_add_f32_e32 v31, v130, v139
	v_cndmask_b32_e64 v130, -v137, v137, s1
	ds_bpermute_b32 v137, v37, v23
	v_cndmask_b32_e64 v23, -v23, v23, s1
	v_cndmask_b32_e64 v88, -v135, v135, s1
	ds_bpermute_b32 v143, v37, v20
	ds_bpermute_b32 v144, v37, v21
	v_cndmask_b32_e64 v135, -v21, v21, s1
	ds_bpermute_b32 v139, v37, v13
	v_cndmask_b32_e64 v13, -v13, v13, s1
	s_wait_dscnt 0x0
	global_inv scope:SCOPE_SE
	v_add_f32_e32 v150, v23, v137
	ds_bpermute_b32 v23, v37, v9
	v_cndmask_b32_e64 v9, -v9, v9, s1
	ds_bpermute_b32 v137, v37, v11
	v_cndmask_b32_e64 v11, -v11, v11, s1
	s_wait_dscnt 0x1
	v_add_f32_e32 v154, v9, v23
	ds_bpermute_b32 v23, v37, v3
	v_cndmask_b32_e64 v3, -v3, v3, s1
	v_add_f32_e32 v147, v88, v134
	ds_bpermute_b32 v134, v37, v18
	v_cndmask_b32_e64 v18, -v18, v18, s1
	v_add_f32_e32 v131, v27, v87
	v_add_f32_e32 v27, v128, v138
	v_cndmask_b32_e64 v128, -v136, v136, s1
	ds_bpermute_b32 v136, v37, v22
	v_cndmask_b32_e64 v22, -v22, v22, s1
	v_add_f32_e32 v87, v132, v140
	v_cndmask_b32_e64 v132, -v20, v20, s1
	ds_bpermute_b32 v138, v37, v12
	v_add_f32_e32 v148, v128, v141
	ds_bpermute_b32 v128, v37, v15
	v_add_f32_e32 v20, v130, v142
	v_cndmask_b32_e64 v12, -v12, v12, s1
	ds_bpermute_b32 v130, v37, v16
	v_cndmask_b32_e64 v15, -v15, v15, s1
	v_add_f32_e32 v88, v135, v144
	ds_bpermute_b32 v135, v37, v19
	v_cndmask_b32_e64 v16, -v16, v16, s1
	v_cndmask_b32_e64 v19, -v19, v19, s1
	ds_bpermute_b32 v140, v37, v14
	s_wait_dscnt 0x7
	v_add_f32_e32 v156, v3, v23
	v_cndmask_b32_e64 v23, -v91, v91, s17
	v_cndmask_b32_e64 v14, -v14, v14, s1
	s_wait_dscnt 0x5
	v_add_f32_e32 v149, v22, v136
	ds_bpermute_b32 v22, v37, v8
	v_cndmask_b32_e64 v8, -v8, v8, s1
	ds_bpermute_b32 v136, v37, v10
	s_wait_dscnt 0x6
	v_add_f32_e32 v12, v12, v138
	ds_bpermute_b32 v138, v37, v4
	s_wait_dscnt 0x6
	v_add_f32_e32 v151, v15, v128
	ds_bpermute_b32 v128, v37, v6
	v_cndmask_b32_e64 v10, -v10, v10, s1
	s_wait_dscnt 0x6
	v_add_f32_e32 v152, v16, v130
	v_add_f32_e32 v16, v18, v134
	v_cndmask_b32_e64 v18, -v4, v4, s1
	ds_bpermute_b32 v134, v37, v1
	ds_bpermute_b32 v130, v37, v7
	v_cndmask_b32_e64 v6, -v6, v6, s1
	s_wait_dscnt 0x5
	v_dual_add_f32 v14, v14, v140 :: v_dual_add_f32 v153, v8, v22
	v_add_f32_e32 v8, v11, v137
	ds_bpermute_b32 v137, v39, v90
	v_add_f32_e32 v21, v132, v143
	ds_bpermute_b32 v132, v37, v17
	v_cndmask_b32_e64 v17, -v17, v17, s1
	v_cndmask_b32_e64 v11, -v0, v0, s1
	s_wait_dscnt 0x5
	v_add_f32_e32 v9, v18, v138
	v_cndmask_b32_e64 v18, -v1, v1, s1
	ds_bpermute_b32 v22, v37, v2
	v_add_f32_e32 v4, v10, v136
	v_cndmask_b32_e64 v10, -v7, v7, s1
	v_cndmask_b32_e64 v2, -v2, v2, s1
	ds_bpermute_b32 v136, v39, v89
	s_wait_dscnt 0x2
	v_add_f32_e32 v15, v17, v132
	ds_bpermute_b32 v132, v37, v0
	v_add_f32_e32 v0, v10, v130
	v_cndmask_b32_e64 v10, -v89, v89, s17
	ds_bpermute_b32 v89, v39, v91
	s_wait_dscnt 0x3
	v_add_f32_e32 v155, v2, v22
	ds_bpermute_b32 v91, v39, v41
	v_cndmask_b32_e64 v22, -v35, v35, s17
	s_wait_dscnt 0x3
	v_add_f32_e32 v3, v10, v136
	v_cndmask_b32_e64 v10, -v33, v33, s17
	s_wait_dscnt 0x2
	v_add_f32_e32 v1, v11, v132
	v_cndmask_b32_e64 v11, -v90, v90, s17
	ds_bpermute_b32 v90, v39, v92
	v_add_f32_e32 v17, v19, v135
	ds_bpermute_b32 v19, v37, v5
	ds_bpermute_b32 v135, v39, v32
	v_cndmask_b32_e64 v5, -v5, v5, s1
	v_add_f32_e32 v37, v6, v128
	v_cndmask_b32_e64 v6, -v32, v32, s17
	ds_bpermute_b32 v32, v39, v35
	ds_bpermute_b32 v35, v39, v40
	;; [unrolled: 1-line block ×3, first 2 shown]
	v_add_f32_e32 v13, v13, v139
	s_wait_dscnt 0x4
	v_add_f32_e32 v7, v5, v19
	ds_bpermute_b32 v19, v39, v34
	s_wait_dscnt 0x4
	v_add_f32_e32 v2, v6, v135
	v_add_f32_e32 v6, v11, v137
	v_cndmask_b32_e64 v11, -v34, v34, s17
	ds_bpermute_b32 v34, v39, v36
	s_wait_dscnt 0x1
	v_add_f32_e32 v158, v11, v19
	v_cndmask_b32_e64 v19, -v36, v36, s17
	v_add_f32_e32 v11, v23, v89
	v_cndmask_b32_e64 v23, -v41, v41, s17
	ds_bpermute_b32 v41, v39, v44
	ds_bpermute_b32 v36, v39, v42
	s_wait_dscnt 0x2
	v_add_f32_e32 v159, v19, v34
	v_cndmask_b32_e64 v34, -v44, v44, s17
	ds_bpermute_b32 v44, v39, v46
	v_add_f32_e32 v5, v18, v134
	ds_bpermute_b32 v18, v39, v33
	v_cndmask_b32_e64 v33, -v92, v92, s17
	ds_bpermute_b32 v92, v39, v93
	ds_bpermute_b32 v89, v39, v95
	v_add_f32_e32 v19, v23, v91
	ds_bpermute_b32 v91, v39, v47
	s_wait_dscnt 0x3
	v_add_f32_e32 v157, v10, v18
	v_add_f32_e32 v10, v22, v32
	v_cndmask_b32_e64 v22, -v40, v40, s17
	ds_bpermute_b32 v40, v39, v43
	v_add_f32_e32 v18, v33, v90
	v_cndmask_b32_e64 v32, -v93, v93, s17
	v_cndmask_b32_e64 v33, -v94, v94, s17
	ds_bpermute_b32 v90, v39, v97
	v_add_f32_e32 v160, v22, v35
	v_cndmask_b32_e64 v35, -v95, v95, s17
	s_wait_dscnt 0x4
	v_add_f32_e32 v22, v32, v92
	v_cndmask_b32_e64 v32, -v42, v42, s17
	v_cndmask_b32_e64 v42, -v97, v97, s17
	ds_bpermute_b32 v97, v39, v105
	v_add_f32_e32 v23, v33, v128
	v_cndmask_b32_e64 v33, -v43, v43, s17
	ds_bpermute_b32 v43, v39, v45
	v_add_f32_e32 v161, v32, v36
	v_cndmask_b32_e64 v36, -v46, v46, s17
	ds_bpermute_b32 v92, v39, v98
	ds_bpermute_b32 v95, v39, v101
	ds_bpermute_b32 v93, v39, v99
	v_add_f32_e32 v32, v34, v41
	s_wait_dscnt 0x6
	v_dual_add_f32 v162, v33, v40 :: v_dual_add_f32 v33, v35, v89
	v_cndmask_b32_e64 v35, -v45, v45, s17
	ds_bpermute_b32 v45, v39, v48
	v_add_f32_e32 v164, v36, v44
	ds_bpermute_b32 v44, v39, v51
	v_cndmask_b32_e64 v36, -v48, v48, s17
	ds_bpermute_b32 v89, v39, v49
	v_cndmask_b32_e64 v40, -v47, v47, s17
	v_cndmask_b32_e64 v41, -v98, v98, s17
	ds_bpermute_b32 v94, v39, v100
	s_wait_dscnt 0x9
	v_add_f32_e32 v34, v42, v90
	ds_bpermute_b32 v90, v39, v50
	s_wait_dscnt 0x8
	v_add_f32_e32 v163, v35, v43
	v_add_f32_e32 v35, v40, v91
	v_cndmask_b32_e64 v40, -v49, v49, s17
	s_wait_dscnt 0x7
	v_add_f32_e32 v46, v41, v92
	v_cndmask_b32_e64 v43, -v101, v101, s17
	ds_bpermute_b32 v92, v39, v102
	v_cndmask_b32_e64 v42, -v99, v99, s17
	ds_bpermute_b32 v48, v39, v52
	;; [unrolled: 2-line block ×3, first 2 shown]
	s_wait_dscnt 0x7
	v_add_f32_e32 v165, v36, v45
	v_cndmask_b32_e64 v36, -v51, v51, s17
	ds_bpermute_b32 v45, v39, v54
	s_wait_dscnt 0x6
	v_dual_add_f32 v166, v40, v89 :: v_dual_add_f32 v89, v43, v95
	v_add_f32_e32 v167, v36, v44
	ds_bpermute_b32 v44, v39, v57
	v_cndmask_b32_e64 v36, -v54, v54, s17
	ds_bpermute_b32 v95, v39, v104
	v_cndmask_b32_e64 v40, -v52, v52, s17
	v_cndmask_b32_e64 v43, -v103, v103, s17
	s_wait_dscnt 0x4
	s_delay_alu instid0(VALU_DEP_2)
	v_add_f32_e32 v168, v40, v48
	v_cndmask_b32_e64 v40, -v55, v55, s17
	ds_bpermute_b32 v48, v39, v58
	s_wait_dscnt 0x3
	v_add_f32_e32 v169, v36, v45
	v_cndmask_b32_e64 v36, -v57, v57, s17
	ds_bpermute_b32 v45, v39, v60
	s_wait_dscnt 0x3
	v_add_f32_e32 v171, v36, v44
	ds_bpermute_b32 v44, v39, v63
	v_add_f32_e32 v47, v42, v93
	v_cndmask_b32_e64 v42, -v100, v100, s17
	v_cndmask_b32_e64 v36, -v60, v60, s17
	v_add_f32_e32 v49, v41, v90
	ds_bpermute_b32 v90, v39, v55
	ds_bpermute_b32 v93, v39, v103
	v_add_f32_e32 v50, v42, v94
	v_cndmask_b32_e64 v42, -v102, v102, s17
	v_cndmask_b32_e64 v41, -v53, v53, s17
	ds_bpermute_b32 v94, v39, v56
	v_add_f32_e32 v52, v42, v92
	v_cndmask_b32_e64 v42, -v104, v104, s17
	ds_bpermute_b32 v92, v39, v106
	v_add_f32_e32 v51, v41, v91
	v_cndmask_b32_e64 v41, -v56, v56, s17
	ds_bpermute_b32 v91, v39, v59
	s_wait_dscnt 0x8
	v_add_f32_e32 v55, v42, v95
	ds_bpermute_b32 v95, v39, v108
	v_cndmask_b32_e64 v42, -v106, v106, s17
	s_wait_dscnt 0x5
	v_add_f32_e32 v170, v40, v90
	v_cndmask_b32_e64 v40, -v58, v58, s17
	ds_bpermute_b32 v90, v39, v61
	s_wait_dscnt 0x4
	v_add_f32_e32 v54, v41, v94
	v_add_f32_e32 v172, v40, v48
	v_cndmask_b32_e64 v40, -v61, v61, s17
	ds_bpermute_b32 v48, v39, v64
	v_cndmask_b32_e64 v41, -v59, v59, s17
	s_wait_dscnt 0x4
	v_add_f32_e32 v58, v42, v92
	v_cndmask_b32_e64 v42, -v108, v108, s17
	v_add_f32_e32 v108, v36, v45
	v_cndmask_b32_e64 v36, -v63, v63, s17
	ds_bpermute_b32 v92, v39, v110
	ds_bpermute_b32 v45, v39, v66
	s_wait_dscnt 0x4
	v_add_f32_e32 v61, v42, v95
	v_cndmask_b32_e64 v42, -v110, v110, s17
	v_add_f32_e32 v110, v36, v44
	ds_bpermute_b32 v44, v39, v69
	v_add_f32_e32 v53, v43, v93
	v_cndmask_b32_e64 v43, -v105, v105, s17
	ds_bpermute_b32 v93, v39, v107
	ds_bpermute_b32 v95, v39, v112
	v_cndmask_b32_e64 v36, -v66, v66, s17
	ds_bpermute_b32 v94, v39, v62
	v_add_f32_e32 v56, v43, v97
	ds_bpermute_b32 v97, v39, v109
	v_cndmask_b32_e64 v43, -v107, v107, s17
	v_add_f32_e32 v57, v41, v91
	v_cndmask_b32_e64 v41, -v62, v62, s17
	ds_bpermute_b32 v91, v39, v65
	s_wait_dscnt 0x4
	v_add_f32_e32 v59, v43, v93
	v_cndmask_b32_e64 v43, -v109, v109, s17
	ds_bpermute_b32 v93, v39, v111
	v_add_f32_e32 v109, v40, v90
	v_cndmask_b32_e64 v40, -v64, v64, s17
	ds_bpermute_b32 v90, v39, v67
	;; [unrolled: 3-line block ×4, first 2 shown]
	s_wait_dscnt 0x5
	v_add_f32_e32 v62, v43, v97
	v_cndmask_b32_e64 v43, -v111, v111, s17
	ds_bpermute_b32 v97, v39, v113
	v_add_f32_e32 v111, v40, v48
	v_cndmask_b32_e64 v40, -v67, v67, s17
	ds_bpermute_b32 v48, v39, v70
	;; [unrolled: 3-line block ×3, first 2 shown]
	v_add_f32_e32 v114, v36, v44
	ds_bpermute_b32 v44, v39, v75
	v_cndmask_b32_e64 v36, -v72, v72, s17
	v_add_f32_e32 v60, v41, v94
	v_cndmask_b32_e64 v41, -v65, v65, s17
	ds_bpermute_b32 v94, v39, v68
	s_wait_dscnt 0x8
	v_add_f32_e32 v65, v43, v93
	v_cndmask_b32_e64 v43, -v113, v113, s17
	ds_bpermute_b32 v93, v39, v115
	s_wait_dscnt 0x8
	v_add_f32_e32 v113, v40, v90
	v_cndmask_b32_e64 v40, -v70, v70, s17
	ds_bpermute_b32 v90, v39, v73
	s_wait_dscnt 0x8
	v_add_f32_e32 v70, v42, v92
	v_cndmask_b32_e64 v42, -v116, v116, s17
	ds_bpermute_b32 v92, v39, v118
	s_wait_dscnt 0x8
	v_add_f32_e32 v116, v36, v45
	v_cndmask_b32_e64 v36, -v75, v75, s17
	ds_bpermute_b32 v45, v39, v78
	v_add_f32_e32 v63, v41, v91
	v_cndmask_b32_e64 v41, -v68, v68, s17
	ds_bpermute_b32 v91, v39, v71
	s_wait_dscnt 0x9
	v_add_f32_e32 v68, v43, v97
	v_cndmask_b32_e64 v43, -v115, v115, s17
	ds_bpermute_b32 v97, v39, v117
	s_wait_dscnt 0x9
	;; [unrolled: 4-line block ×4, first 2 shown]
	v_add_f32_e32 v118, v36, v44
	ds_bpermute_b32 v44, v39, v81
	v_cndmask_b32_e64 v36, -v78, v78, s17
	s_wait_dscnt 0x9
	v_add_f32_e32 v66, v41, v94
	v_cndmask_b32_e64 v41, -v71, v71, s17
	ds_bpermute_b32 v94, v39, v74
	s_wait_dscnt 0x9
	v_add_f32_e32 v71, v43, v93
	v_cndmask_b32_e64 v43, -v117, v117, s17
	s_wait_dscnt 0x8
	v_add_f32_e32 v117, v40, v90
	v_cndmask_b32_e64 v40, -v76, v76, s17
	;; [unrolled: 3-line block ×5, first 2 shown]
	ds_bpermute_b32 v91, v39, v77
	ds_bpermute_b32 v93, v39, v119
	s_wait_dscnt 0x6
	v_add_f32_e32 v74, v43, v97
	v_cndmask_b32_e64 v43, -v119, v119, s17
	ds_bpermute_b32 v90, v39, v79
	s_wait_dscnt 0x6
	v_add_f32_e32 v119, v40, v48
	v_cndmask_b32_e64 v40, -v79, v79, s17
	ds_bpermute_b32 v92, v39, v122
	s_wait_dscnt 0x6
	v_add_f32_e32 v79, v42, v95
	v_cndmask_b32_e64 v42, -v122, v122, s17
	ds_bpermute_b32 v45, v39, v84
	s_wait_dscnt 0x6
	v_add_f32_e32 v122, v36, v44
	ds_bpermute_b32 v44, v39, v28
	s_wait_dscnt 0x6
	v_add_f32_e32 v72, v41, v94
	v_cndmask_b32_e64 v41, -v77, v77, s17
	ds_bpermute_b32 v94, v39, v80
	v_cndmask_b32_e64 v36, -v84, v84, s17
	v_cndmask_b32_e64 v28, -v28, v28, s17
	ds_bpermute_b32 v97, v39, v121
	ds_bpermute_b32 v48, v39, v82
	;; [unrolled: 1-line block ×3, first 2 shown]
	s_wait_dscnt 0x8
	v_add_f32_e32 v77, v43, v93
	v_cndmask_b32_e64 v43, -v121, v121, s17
	ds_bpermute_b32 v93, v39, v123
	s_wait_dscnt 0x8
	v_add_f32_e32 v121, v40, v90
	v_cndmask_b32_e64 v40, -v82, v82, s17
	ds_bpermute_b32 v90, v39, v85
	;; [unrolled: 4-line block ×4, first 2 shown]
	s_wait_dscnt 0x8
	v_add_f32_e32 v127, v28, v44
	v_cndmask_b32_e64 v28, -v131, v131, s17
	v_add_f32_e32 v75, v41, v91
	ds_bpermute_b32 v91, v39, v83
	v_cndmask_b32_e64 v41, -v80, v80, s17
	s_wait_dscnt 0x7
	v_add_f32_e32 v80, v43, v97
	ds_bpermute_b32 v97, v39, v126
	v_cndmask_b32_e64 v43, -v123, v123, s17
	s_wait_dscnt 0x7
	v_dual_add_f32 v123, v40, v48 :: v_dual_add_f32 v78, v41, v94
	v_cndmask_b32_e64 v41, -v83, v83, s17
	ds_bpermute_b32 v94, v39, v86
	s_wait_dscnt 0x6
	v_add_f32_e32 v83, v43, v93
	v_cndmask_b32_e64 v40, -v85, v85, s17
	v_cndmask_b32_e64 v43, -v126, v126, s17
	ds_bpermute_b32 v93, v39, v129
	ds_bpermute_b32 v44, v39, v147
	;; [unrolled: 1-line block ×3, first 2 shown]
	s_wait_dscnt 0x8
	v_add_f32_e32 v126, v40, v90
	v_cndmask_b32_e64 v40, -v129, v129, s17
	v_add_f32_e32 v85, v42, v95
	ds_bpermute_b32 v95, v39, v133
	v_cndmask_b32_e64 v29, -v29, v29, s17
	s_wait_dscnt 0x6
	v_add_f32_e32 v81, v41, v91
	ds_bpermute_b32 v91, v39, v30
	v_cndmask_b32_e64 v41, -v86, v86, s17
	v_cndmask_b32_e64 v30, -v30, v30, s17
	s_wait_dscnt 0x6
	v_add_f32_e32 v86, v43, v97
	ds_bpermute_b32 v43, v39, v26
	v_cndmask_b32_e64 v26, -v26, v26, s17
	ds_bpermute_b32 v42, v39, v25
	s_wait_dscnt 0x7
	v_add_f32_e32 v84, v41, v94
	ds_bpermute_b32 v41, v39, v24
	v_cndmask_b32_e64 v24, -v24, v24, s17
	v_cndmask_b32_e64 v25, -v25, v25, s17
	v_add_f32_e32 v94, v28, v45
	v_cndmask_b32_e64 v28, -v148, v148, s17
	s_wait_dscnt 0x3
	v_add_f32_e32 v90, v30, v91
	ds_bpermute_b32 v30, v39, v27
	v_add_f32_e32 v91, v36, v92
	v_add_f32_e32 v92, v40, v93
	ds_bpermute_b32 v40, v39, v87
	s_wait_dscnt 0x4
	v_add_f32_e32 v93, v26, v43
	ds_bpermute_b32 v43, v39, v150
	v_cndmask_b32_e64 v26, -v87, v87, s17
	s_wait_dscnt 0x3
	v_add_f32_e32 v131, v24, v41
	v_cndmask_b32_e64 v24, -v27, v27, s17
	v_cndmask_b32_e64 v27, -v147, v147, s17
	ds_bpermute_b32 v36, v39, v31
	ds_bpermute_b32 v41, v39, v88
	v_add_f32_e32 v97, v27, v44
	ds_bpermute_b32 v27, v39, v12
	ds_bpermute_b32 v44, v39, v152
	v_cndmask_b32_e64 v12, -v12, v12, s17
	s_wait_dscnt 0x6
	v_add_f32_e32 v147, v24, v30
	ds_bpermute_b32 v30, v39, v14
	v_cndmask_b32_e64 v14, -v14, v14, s17
	s_wait_dscnt 0x6
	v_add_f32_e32 v87, v26, v40
	v_cndmask_b32_e64 v26, -v150, v150, s17
	v_cndmask_b32_e64 v24, -v88, v88, s17
	s_wait_dscnt 0x5
	s_delay_alu instid0(VALU_DEP_2)
	v_add_f32_e32 v100, v26, v43
	ds_bpermute_b32 v26, v39, v17
	s_wait_dscnt 0x4
	v_add_f32_e32 v88, v24, v41
	ds_bpermute_b32 v24, v39, v15
	s_wait_dscnt 0x2
	v_add_f32_e32 v40, v14, v30
	v_cndmask_b32_e64 v14, -v17, v17, s17
	ds_bpermute_b32 v17, v39, v4
	v_cndmask_b32_e64 v4, -v4, v4, s17
	v_add_f32_e32 v129, v29, v48
	v_cndmask_b32_e64 v29, -v133, v133, s17
	ds_bpermute_b32 v48, v39, v148
	ds_bpermute_b32 v30, v38, v46
	v_add_f32_e32 v95, v29, v95
	ds_bpermute_b32 v29, v39, v20
	v_cndmask_b32_e64 v20, -v20, v20, s17
	s_wait_dscnt 0x3
	v_add_f32_e32 v106, v4, v17
	v_cndmask_b32_e64 v4, -v5, v5, s17
	v_add_f32_e32 v133, v25, v42
	v_cndmask_b32_e64 v25, -v31, v31, s17
	ds_bpermute_b32 v31, v39, v21
	ds_bpermute_b32 v42, v39, v149
	s_wait_dscnt 0x4
	v_add_f32_e32 v98, v28, v48
	ds_bpermute_b32 v28, v39, v13
	v_add_f32_e32 v148, v25, v36
	v_cndmask_b32_e64 v25, -v149, v149, s17
	s_wait_dscnt 0x3
	v_add_f32_e32 v149, v20, v29
	ds_bpermute_b32 v29, v39, v153
	v_cndmask_b32_e64 v21, -v21, v21, s17
	ds_bpermute_b32 v36, v39, v151
	v_cndmask_b32_e64 v13, -v13, v13, s17
	v_cndmask_b32_e64 v20, -v151, v151, s17
	v_add_f32_e32 v151, v12, v27
	v_cndmask_b32_e64 v12, -v15, v15, s17
	v_cndmask_b32_e64 v15, -v153, v153, s17
	ds_bpermute_b32 v27, v39, v7
	ds_bpermute_b32 v17, v38, v157
	v_cndmask_b32_e64 v7, -v7, v7, s17
	ds_bpermute_b32 v128, v38, v148
	s_wait_dscnt 0x7
	v_add_f32_e32 v150, v21, v31
	s_wait_dscnt 0x6
	v_add_f32_e32 v99, v25, v42
	v_cndmask_b32_e64 v21, -v152, v152, s17
	ds_bpermute_b32 v25, v39, v16
	ds_bpermute_b32 v31, v39, v154
	s_wait_dscnt 0x7
	v_add_f32_e32 v152, v13, v28
	ds_bpermute_b32 v28, v39, v37
	v_add_f32_e32 v42, v21, v44
	ds_bpermute_b32 v21, v39, v9
	s_wait_dscnt 0x8
	v_add_f32_e32 v44, v15, v29
	ds_bpermute_b32 v15, v39, v5
	s_wait_dscnt 0x8
	v_add_f32_e32 v41, v20, v36
	v_cndmask_b32_e64 v13, -v16, v16, s17
	v_cndmask_b32_e64 v16, -v154, v154, s17
	ds_bpermute_b32 v20, v39, v8
	v_cndmask_b32_e64 v9, -v9, v9, s17
	ds_bpermute_b32 v29, v38, v35
	v_add_f32_e32 v43, v14, v26
	ds_bpermute_b32 v14, v39, v1
	v_cndmask_b32_e64 v8, -v8, v8, s17
	v_cndmask_b32_e64 v1, -v1, v1, s17
	;; [unrolled: 1-line block ×3, first 2 shown]
	s_wait_dscnt 0xa
	v_add_f32_e32 v104, v7, v27
	s_wait_dscnt 0x6
	v_dual_add_f32 v102, v13, v25 :: v_dual_add_f32 v45, v16, v31
	ds_bpermute_b32 v13, v39, v0
	ds_bpermute_b32 v31, v38, v47
	v_add_f32_e32 v101, v12, v24
	v_cndmask_b32_e64 v12, -v37, v37, s17
	ds_bpermute_b32 v16, v39, v155
	s_wait_dscnt 0x7
	v_add_f32_e32 v105, v9, v21
	ds_bpermute_b32 v9, v38, v3
	s_wait_dscnt 0x7
	v_add_f32_e32 v36, v4, v15
	v_add_f32_e32 v103, v12, v28
	ds_bpermute_b32 v12, v38, v6
	ds_bpermute_b32 v15, v38, v11
	s_wait_dscnt 0x8
	v_add_f32_e32 v107, v8, v20
	v_cndmask_b32_e64 v0, -v0, v0, s17
	ds_bpermute_b32 v8, v38, v2
	ds_bpermute_b32 v20, v38, v158
	;; [unrolled: 1-line block ×3, first 2 shown]
	s_wait_dscnt 0x9
	v_add_f32_e32 v39, v1, v14
	v_cndmask_b32_e64 v1, -v3, v3, s0
	ds_bpermute_b32 v14, v38, v10
	ds_bpermute_b32 v21, v38, v159
	s_wait_dscnt 0xa
	v_add_f32_e32 v153, v0, v13
	v_cndmask_b32_e64 v0, -v2, v2, s0
	v_cndmask_b32_e64 v2, -v6, v6, s0
	v_cndmask_b32_e64 v13, -v158, v158, s0
	s_wait_dscnt 0x8
	v_add_f32_e32 v37, v5, v16
	ds_bpermute_b32 v16, v38, v18
	s_wait_dscnt 0x8
	v_add_f32_e32 v5, v1, v9
	v_cndmask_b32_e64 v1, -v10, v10, s0
	ds_bpermute_b32 v10, v38, v19
	s_wait_dscnt 0x8
	v_add_f32_e32 v6, v2, v12
	v_cndmask_b32_e64 v2, -v11, v11, s0
	ds_bpermute_b32 v11, v38, v22
	v_cndmask_b32_e64 v7, -v156, v156, s17
	s_wait_dscnt 0x7
	v_add_f32_e32 v4, v0, v8
	s_wait_dscnt 0x6
	v_add_f32_e32 v0, v13, v20
	v_add_f32_e32 v2, v2, v15
	v_cndmask_b32_e64 v15, -v22, v22, s0
	ds_bpermute_b32 v22, v38, v34
	ds_bpermute_b32 v13, v38, v161
	v_cndmask_b32_e64 v3, -v157, v157, s0
	s_wait_dscnt 0x6
	v_add_f32_e32 v1, v1, v14
	v_cndmask_b32_e64 v14, -v19, v19, s0
	v_add_f32_e32 v48, v7, v24
	v_cndmask_b32_e64 v8, -v159, v159, s0
	;; [unrolled: 2-line block ×3, first 2 shown]
	ds_bpermute_b32 v12, v38, v23
	ds_bpermute_b32 v24, v38, v160
	s_wait_dscnt 0x5
	v_add_f32_e32 v10, v14, v10
	v_cndmask_b32_e64 v14, -v34, v34, s0
	ds_bpermute_b32 v18, v38, v162
	v_add_f32_e32 v8, v8, v21
	v_cndmask_b32_e64 v17, -v161, v161, s0
	ds_bpermute_b32 v20, v38, v32
	ds_bpermute_b32 v21, v38, v33
	;; [unrolled: 1-line block ×3, first 2 shown]
	v_cndmask_b32_e64 v9, -v160, v160, s0
	s_wait_dscnt 0x7
	v_add_f32_e32 v25, v14, v22
	v_cndmask_b32_e64 v14, -v47, v47, s0
	ds_bpermute_b32 v47, v38, v109
	v_add_f32_e32 v3, v3, v16
	v_cndmask_b32_e64 v16, -v23, v23, s0
	ds_bpermute_b32 v23, v38, v163
	s_wait_dscnt 0x8
	v_add_f32_e32 v17, v17, v13
	v_cndmask_b32_e64 v13, -v33, v33, s0
	ds_bpermute_b32 v33, v38, v166
	v_cndmask_b32_e64 v19, -v162, v162, s0
	s_wait_dscnt 0x8
	v_dual_add_f32 v11, v15, v11 :: v_dual_add_f32 v16, v16, v12
	v_cndmask_b32_e64 v12, -v32, v32, s0
	v_cndmask_b32_e64 v15, -v163, v163, s0
	;; [unrolled: 1-line block ×3, first 2 shown]
	ds_bpermute_b32 v32, v38, v165
	s_wait_dscnt 0x7
	v_dual_add_f32 v9, v9, v24 :: v_dual_add_f32 v18, v19, v18
	s_wait_dscnt 0x5
	v_dual_add_f32 v19, v12, v20 :: v_dual_add_f32 v24, v13, v21
	s_wait_dscnt 0x4
	v_add_f32_e32 v27, v28, v27
	v_cndmask_b32_e64 v12, -v35, v35, s0
	v_cndmask_b32_e64 v20, -v166, v166, s0
	ds_bpermute_b32 v21, v38, v49
	ds_bpermute_b32 v22, v38, v50
	s_wait_dscnt 0x4
	v_add_f32_e32 v26, v15, v23
	ds_bpermute_b32 v23, v38, v89
	ds_bpermute_b32 v28, v38, v167
	;; [unrolled: 1-line block ×3, first 2 shown]
	v_add_f32_e32 v134, v12, v29
	v_add_f32_e32 v136, v14, v31
	s_wait_dscnt 0x6
	v_add_f32_e32 v138, v20, v33
	ds_bpermute_b32 v29, v38, v51
	ds_bpermute_b32 v31, v38, v53
	;; [unrolled: 1-line block ×3, first 2 shown]
	v_cndmask_b32_e64 v13, -v46, v46, s0
	v_cndmask_b32_e64 v15, -v165, v165, s0
	;; [unrolled: 1-line block ×5, first 2 shown]
	v_add_f32_e32 v135, v13, v30
	s_wait_dscnt 0x8
	v_add_f32_e32 v137, v15, v32
	v_cndmask_b32_e64 v13, -v50, v50, s0
	v_cndmask_b32_e64 v15, -v167, v167, s0
	ds_bpermute_b32 v30, v38, v52
	ds_bpermute_b32 v32, v38, v169
	s_wait_dscnt 0x8
	v_dual_add_f32 v139, v12, v21 :: v_dual_add_f32 v140, v13, v22
	s_wait_dscnt 0x7
	v_add_f32_e32 v141, v14, v23
	s_wait_dscnt 0x5
	v_dual_add_f32 v49, v15, v28 :: v_dual_add_f32 v50, v20, v34
	v_cndmask_b32_e64 v12, -v51, v51, s0
	v_cndmask_b32_e64 v14, -v53, v53, s0
	;; [unrolled: 1-line block ×3, first 2 shown]
	ds_bpermute_b32 v21, v38, v54
	ds_bpermute_b32 v22, v38, v55
	;; [unrolled: 1-line block ×4, first 2 shown]
	s_wait_dscnt 0x7
	v_dual_add_f32 v51, v12, v29 :: v_dual_add_f32 v12, v14, v31
	s_wait_dscnt 0x6
	v_add_f32_e32 v14, v20, v33
	ds_bpermute_b32 v33, v38, v58
	v_cndmask_b32_e64 v13, -v52, v52, s0
	v_cndmask_b32_e64 v15, -v169, v169, s0
	ds_bpermute_b32 v34, v38, v172
	v_cndmask_b32_e64 v20, -v55, v55, s0
	v_cndmask_b32_e64 v29, -v56, v56, s0
	s_wait_dscnt 0x6
	v_dual_add_f32 v52, v13, v30 :: v_dual_add_f32 v13, v15, v32
	v_cndmask_b32_e64 v15, -v54, v54, s0
	v_cndmask_b32_e64 v30, -v171, v171, s0
	ds_bpermute_b32 v32, v38, v57
	ds_bpermute_b32 v35, v38, v59
	;; [unrolled: 1-line block ×3, first 2 shown]
	s_wait_dscnt 0x7
	v_dual_add_f32 v15, v15, v21 :: v_dual_add_f32 v20, v20, v22
	s_wait_dscnt 0x5
	v_dual_add_f32 v21, v29, v23 :: v_dual_add_f32 v22, v30, v28
	v_cndmask_b32_e64 v28, -v57, v57, s0
	v_cndmask_b32_e64 v29, -v58, v58, s0
	ds_bpermute_b32 v54, v38, v60
	ds_bpermute_b32 v57, v38, v110
	;; [unrolled: 1-line block ×3, first 2 shown]
	v_cndmask_b32_e64 v31, -v172, v172, s0
	v_cndmask_b32_e64 v30, -v59, v59, s0
	ds_bpermute_b32 v55, v38, v61
	ds_bpermute_b32 v56, v38, v62
	s_wait_dscnt 0x9
	v_add_f32_e32 v33, v29, v33
	v_cndmask_b32_e64 v29, -v60, v60, s0
	ds_bpermute_b32 v59, v38, v63
	ds_bpermute_b32 v60, v38, v64
	;; [unrolled: 1-line block ×3, first 2 shown]
	s_wait_dscnt 0xb
	v_add_f32_e32 v23, v31, v34
	v_cndmask_b32_e64 v31, -v108, v108, s0
	v_cndmask_b32_e64 v53, -v109, v109, s0
	s_wait_dscnt 0xa
	v_add_f32_e32 v32, v28, v32
	s_wait_dscnt 0x9
	v_add_f32_e32 v34, v30, v35
	v_cndmask_b32_e64 v30, -v61, v61, s0
	s_wait_dscnt 0x8
	v_dual_add_f32 v35, v31, v46 :: v_dual_add_f32 v28, v53, v47
	v_cndmask_b32_e64 v31, -v62, v62, s0
	v_cndmask_b32_e64 v46, -v110, v110, s0
	;; [unrolled: 1-line block ×3, first 2 shown]
	ds_bpermute_b32 v62, v38, v112
	s_wait_dscnt 0x8
	v_add_f32_e32 v29, v29, v54
	ds_bpermute_b32 v108, v38, v68
	s_wait_dscnt 0x7
	v_dual_add_f32 v53, v46, v57 :: v_dual_add_f32 v54, v47, v58
	v_cndmask_b32_e64 v46, -v63, v63, s0
	v_cndmask_b32_e64 v47, -v64, v64, s0
	;; [unrolled: 1-line block ×3, first 2 shown]
	ds_bpermute_b32 v64, v38, v66
	ds_bpermute_b32 v109, v38, v114
	;; [unrolled: 1-line block ×4, first 2 shown]
	s_wait_dscnt 0x9
	v_dual_add_f32 v30, v30, v55 :: v_dual_add_f32 v31, v31, v56
	v_cndmask_b32_e64 v57, -v65, v65, s0
	ds_bpermute_b32 v65, v38, v67
	s_wait_dscnt 0x8
	v_dual_add_f32 v55, v46, v59 :: v_dual_add_f32 v56, v47, v60
	s_wait_dscnt 0x7
	v_add_f32_e32 v59, v63, v89
	v_cndmask_b32_e64 v47, -v67, v67, s0
	ds_bpermute_b32 v67, v38, v69
	ds_bpermute_b32 v89, v38, v71
	v_cndmask_b32_e64 v58, -v112, v112, s0
	v_cndmask_b32_e64 v46, -v66, v66, s0
	;; [unrolled: 1-line block ×4, first 2 shown]
	ds_bpermute_b32 v111, v38, v116
	s_wait_dscnt 0x9
	v_add_f32_e32 v58, v58, v62
	v_cndmask_b32_e64 v62, -v68, v68, s0
	ds_bpermute_b32 v68, v38, v70
	ds_bpermute_b32 v112, v38, v117
	s_wait_dscnt 0x8
	v_dual_add_f32 v60, v46, v64 :: v_dual_add_f32 v63, v63, v109
	v_add_f32_e32 v62, v62, v108
	s_wait_dscnt 0x7
	v_add_f32_e32 v64, v66, v110
	v_cndmask_b32_e64 v46, -v69, v69, s0
	v_cndmask_b32_e64 v69, -v71, v71, s0
	ds_bpermute_b32 v108, v38, v72
	ds_bpermute_b32 v109, v38, v73
	;; [unrolled: 1-line block ×5, first 2 shown]
	s_wait_dscnt 0xb
	v_add_f32_e32 v57, v57, v61
	ds_bpermute_b32 v115, v38, v120
	ds_bpermute_b32 v130, v38, v149
	s_wait_dscnt 0xc
	v_add_f32_e32 v61, v47, v65
	v_cndmask_b32_e64 v47, -v70, v70, s0
	v_cndmask_b32_e64 v70, -v116, v116, s0
	s_wait_dscnt 0xb
	v_add_f32_e32 v65, v46, v67
	s_wait_dscnt 0xa
	v_add_f32_e32 v67, v69, v89
	ds_bpermute_b32 v89, v38, v75
	ds_bpermute_b32 v116, v38, v121
	v_cndmask_b32_e64 v71, -v117, v117, s0
	ds_bpermute_b32 v117, v38, v80
	s_wait_dscnt 0xb
	v_add_f32_e32 v66, v47, v68
	v_add_f32_e32 v68, v70, v111
	v_cndmask_b32_e64 v46, -v72, v72, s0
	v_cndmask_b32_e64 v47, -v73, v73, s0
	;; [unrolled: 1-line block ×5, first 2 shown]
	ds_bpermute_b32 v111, v38, v76
	s_wait_dscnt 0xb
	v_add_f32_e32 v69, v71, v112
	ds_bpermute_b32 v112, v38, v77
	s_wait_dscnt 0xa
	v_dual_add_f32 v70, v46, v108 :: v_dual_add_f32 v71, v47, v109
	s_wait_dscnt 0x9
	v_add_f32_e32 v72, v72, v110
	s_wait_dscnt 0x7
	v_add_f32_e32 v74, v74, v114
	v_cndmask_b32_e64 v46, -v75, v75, s0
	v_cndmask_b32_e64 v109, -v120, v120, s0
	;; [unrolled: 1-line block ×3, first 2 shown]
	ds_bpermute_b32 v114, v38, v79
	ds_bpermute_b32 v118, v38, v122
	;; [unrolled: 1-line block ×3, first 2 shown]
	v_add_f32_e32 v73, v73, v113
	ds_bpermute_b32 v113, v38, v78
	ds_bpermute_b32 v119, v38, v123
	s_wait_dscnt 0x9
	v_add_f32_e32 v75, v46, v89
	s_wait_dscnt 0x8
	v_dual_add_f32 v109, v109, v115 :: v_dual_add_f32 v110, v110, v116
	v_cndmask_b32_e64 v46, -v78, v78, s0
	v_cndmask_b32_e64 v78, -v80, v80, s0
	ds_bpermute_b32 v89, v38, v81
	ds_bpermute_b32 v115, v38, v82
	;; [unrolled: 1-line block ×5, first 2 shown]
	v_cndmask_b32_e64 v47, -v76, v76, s0
	v_cndmask_b32_e64 v80, -v123, v123, s0
	s_wait_dscnt 0xc
	v_add_f32_e32 v78, v78, v117
	ds_bpermute_b32 v117, v38, v84
	ds_bpermute_b32 v123, v38, v129
	v_cndmask_b32_e64 v77, -v77, v77, s0
	s_wait_dscnt 0xd
	v_add_f32_e32 v76, v47, v111
	v_cndmask_b32_e64 v47, -v79, v79, s0
	v_cndmask_b32_e64 v79, -v122, v122, s0
	s_wait_dscnt 0x8
	v_dual_add_f32 v111, v46, v113 :: v_dual_add_f32 v108, v77, v112
	v_cndmask_b32_e64 v46, -v81, v81, s0
	v_add_f32_e32 v77, v47, v114
	v_add_f32_e32 v79, v79, v118
	v_cndmask_b32_e64 v47, -v82, v82, s0
	v_cndmask_b32_e64 v81, -v83, v83, s0
	;; [unrolled: 1-line block ×4, first 2 shown]
	ds_bpermute_b32 v118, v38, v85
	ds_bpermute_b32 v122, v38, v127
	s_wait_dscnt 0x9
	v_add_f32_e32 v80, v80, v119
	ds_bpermute_b32 v119, v38, v86
	s_wait_dscnt 0x9
	v_add_f32_e32 v112, v46, v89
	s_wait_dscnt 0x7
	v_add_f32_e32 v114, v81, v116
	v_cndmask_b32_e64 v46, -v84, v84, s0
	v_cndmask_b32_e64 v84, -v86, v86, s0
	;; [unrolled: 1-line block ×3, first 2 shown]
	ds_bpermute_b32 v89, v38, v90
	ds_bpermute_b32 v145, v38, v102
	v_add_f32_e32 v113, v47, v115
	s_wait_dscnt 0x8
	v_add_f32_e32 v115, v82, v120
	ds_bpermute_b32 v120, v38, v91
	ds_store_b128 v96, v[4:7]
	ds_store_b128 v96, v[0:3] offset:4096
	ds_store_b128 v96, v[8:11] offset:8192
	;; [unrolled: 1-line block ×7, first 2 shown]
	s_wait_loadcnt_dscnt 0x0
	s_barrier_signal -1
	s_barrier_wait -1
	global_inv scope:SCOPE_SE
	ds_load_b128 v[0:3], v124
	ds_load_b128 v[4:7], v124 offset:8192
	ds_load_b128 v[8:11], v124 offset:16384
	;; [unrolled: 1-line block ×3, first 2 shown]
	v_add_f32_e32 v81, v83, v121
	ds_bpermute_b32 v121, v38, v92
	v_add_f32_e32 v82, v46, v117
	v_cndmask_b32_e64 v51, -v36, v36, s0
	v_add_f32_e32 v117, v86, v123
	ds_bpermute_b32 v123, v38, v95
	v_cndmask_b32_e64 v47, -v85, v85, s0
	v_cndmask_b32_e64 v85, -v127, v127, s0
	ds_bpermute_b32 v125, v38, v131
	v_cndmask_b32_e64 v46, -v90, v90, s0
	ds_bpermute_b32 v126, v38, v133
	v_add_f32_e32 v83, v47, v118
	v_add_f32_e32 v116, v85, v122
	v_cndmask_b32_e64 v47, -v91, v91, s0
	v_cndmask_b32_e64 v85, -v92, v92, s0
	ds_bpermute_b32 v92, v38, v93
	ds_bpermute_b32 v122, v38, v94
	v_add_f32_e32 v84, v84, v119
	v_cndmask_b32_e64 v86, -v131, v131, s0
	ds_bpermute_b32 v127, v38, v147
	v_add_f32_e32 v118, v46, v89
	s_wait_dscnt 0x6
	v_dual_add_f32 v89, v85, v121 :: v_dual_add_f32 v194, v8, v16
	v_cndmask_b32_e64 v46, -v93, v93, s0
	v_cndmask_b32_e64 v85, -v95, v95, s0
	;; [unrolled: 1-line block ×3, first 2 shown]
	ds_bpermute_b32 v95, v38, v97
	ds_bpermute_b32 v129, v38, v98
	;; [unrolled: 1-line block ×4, first 2 shown]
	v_cndmask_b32_e64 v48, -v48, v48, s0
	v_add_f32_e32 v119, v47, v120
	v_cndmask_b32_e64 v47, -v94, v94, s0
	ds_bpermute_b32 v94, v38, v87
	v_cndmask_b32_e64 v91, -v133, v133, s0
	s_wait_dscnt 0xa
	v_dual_add_f32 v121, v85, v123 :: v_dual_add_f32 v196, v2, v6
	ds_bpermute_b32 v133, v38, v100
	v_add_f32_e32 v192, v0, v4
	v_add_f32_e32 v123, v93, v128
	ds_bpermute_b32 v93, v38, v88
	ds_bpermute_b32 v142, v38, v151
	s_wait_dscnt 0xc
	v_add_f32_e32 v90, v86, v125
	v_cndmask_b32_e64 v86, -v147, v147, s0
	s_wait_dscnt 0xa
	v_add_f32_e32 v92, v46, v92
	s_wait_dscnt 0x9
	v_add_f32_e32 v120, v47, v122
	v_cndmask_b32_e64 v46, -v87, v87, s0
	v_cndmask_b32_e64 v47, -v97, v97, s0
	;; [unrolled: 1-line block ×4, first 2 shown]
	s_wait_dscnt 0x8
	v_add_f32_e32 v122, v86, v127
	v_cndmask_b32_e64 v86, -v149, v149, s0
	ds_bpermute_b32 v132, v38, v99
	s_wait_dscnt 0x4
	v_dual_add_f32 v125, v46, v94 :: v_dual_add_f32 v198, v3, v7
	v_add_f32_e32 v127, v85, v129
	v_add_f32_e32 v97, v87, v131
	v_cndmask_b32_e64 v46, -v88, v88, s0
	v_cndmask_b32_e64 v85, -v100, v100, s0
	;; [unrolled: 1-line block ×3, first 2 shown]
	ds_bpermute_b32 v88, v38, v40
	ds_bpermute_b32 v94, v38, v41
	v_add_f32_e32 v197, v10, v18
	v_add_f32_e32 v91, v91, v126
	;; [unrolled: 1-line block ×3, first 2 shown]
	ds_bpermute_b32 v95, v38, v42
	v_add_f32_e32 v128, v86, v130
	v_cndmask_b32_e64 v86, -v151, v151, s0
	ds_bpermute_b32 v144, v38, v101
	s_wait_dscnt 0x6
	v_add_f32_e32 v98, v46, v93
	v_add_f32_e32 v100, v85, v133
	;; [unrolled: 1-line block ×3, first 2 shown]
	ds_bpermute_b32 v46, v38, v43
	ds_bpermute_b32 v85, v38, v45
	;; [unrolled: 1-line block ×3, first 2 shown]
	s_wait_dscnt 0x8
	v_add_f32_e32 v129, v86, v142
	ds_bpermute_b32 v86, v38, v106
	v_cndmask_b32_e64 v47, -v99, v99, s0
	v_cndmask_b32_e64 v40, -v40, v40, s0
	;; [unrolled: 1-line block ×5, first 2 shown]
	s_wait_dscnt 0x8
	v_add_f32_e32 v99, v47, v132
	ds_bpermute_b32 v47, v38, v44
	v_cndmask_b32_e64 v101, -v102, v102, s0
	s_wait_dscnt 0x7
	v_dual_add_f32 v131, v40, v88 :: v_dual_add_f32 v132, v41, v94
	s_wait_dscnt 0x6
	v_add_f32_e32 v142, v42, v95
	v_cndmask_b32_e64 v40, -v43, v43, s0
	v_cndmask_b32_e64 v41, -v44, v44, s0
	;; [unrolled: 1-line block ×4, first 2 shown]
	s_wait_dscnt 0x5
	v_add_f32_e32 v143, v93, v144
	v_add_f32_e32 v144, v101, v145
	v_cndmask_b32_e64 v43, -v106, v106, s0
	s_wait_dscnt 0x3
	v_dual_add_f32 v145, v40, v46 :: v_dual_add_f32 v148, v42, v85
	s_wait_dscnt 0x2
	v_add_f32_e32 v150, v44, v87
	ds_bpermute_b32 v40, v38, v105
	ds_bpermute_b32 v42, v38, v104
	;; [unrolled: 1-line block ×4, first 2 shown]
	s_wait_dscnt 0x5
	v_add_f32_e32 v149, v43, v86
	ds_bpermute_b32 v85, v38, v39
	ds_bpermute_b32 v86, v38, v36
	;; [unrolled: 1-line block ×3, first 2 shown]
	s_wait_dscnt 0x7
	v_add_f32_e32 v147, v41, v47
	v_cndmask_b32_e64 v41, -v105, v105, s0
	v_cndmask_b32_e64 v43, -v104, v104, s0
	v_cndmask_b32_e64 v45, -v103, v103, s0
	v_cndmask_b32_e64 v47, -v153, v153, s0
	v_cndmask_b32_e64 v49, -v39, v39, s0
	v_cndmask_b32_e64 v52, -v37, v37, s0
	v_add_f32_e32 v136, v48, v50
	v_add_f32_e32 v160, v192, v194
	s_mul_u64 s[0:1], s[26:27], s[28:29]
	s_wait_alu 0xfffe
	s_lshl_b64 s[0:1], s[0:1], 1
	s_wait_dscnt 0x5
	v_dual_add_f32 v101, v41, v40 :: v_dual_add_f32 v102, v43, v42
	s_wait_dscnt 0x3
	v_dual_add_f32 v103, v45, v44 :: v_dual_add_f32 v104, v47, v46
	ds_load_b128 v[36:39], v124 offset:4096
	ds_load_b128 v[44:47], v124 offset:12288
	;; [unrolled: 1-line block ×4, first 2 shown]
	s_wait_dscnt 0x5
	v_dual_add_f32 v133, v49, v85 :: v_dual_add_f32 v134, v51, v86
	s_wait_dscnt 0x4
	v_add_f32_e32 v135, v52, v87
	s_wait_loadcnt_dscnt 0x0
	s_barrier_signal -1
	s_barrier_wait -1
	global_inv scope:SCOPE_SE
	ds_store_b128 v96, v[12:15]
	ds_store_b128 v96, v[20:23] offset:4096
	ds_store_b128 v96, v[32:35] offset:8192
	;; [unrolled: 1-line block ×7, first 2 shown]
	s_wait_loadcnt_dscnt 0x0
	s_barrier_signal -1
	s_barrier_wait -1
	global_inv scope:SCOPE_SE
	ds_load_b128 v[56:59], v124
	ds_load_b128 v[32:35], v124 offset:4096
	ds_load_b128 v[60:63], v124 offset:8192
	;; [unrolled: 1-line block ×7, first 2 shown]
	s_wait_loadcnt_dscnt 0x0
	s_barrier_signal -1
	s_barrier_wait -1
	global_inv scope:SCOPE_SE
	v_add_f32_e32 v200, v36, v44
	v_add_f32_e32 v204, v38, v46
	;; [unrolled: 1-line block ×4, first 2 shown]
	s_wait_alu 0xfffe
	s_add_nc_u64 s[18:19], s[22:23], s[0:1]
	s_delay_alu instid0(VALU_DEP_2) | instskip(NEXT) | instid1(VALU_DEP_2)
	v_add_f32_e32 v164, v200, v202
	v_add_f32_e32 v166, v204, v206
	;; [unrolled: 1-line block ×10, first 2 shown]
	ds_store_b128 v96, v[69:72]
	ds_store_b128 v96, v[73:76] offset:4096
	ds_store_b128 v96, v[108:111] offset:8192
	;; [unrolled: 1-line block ×7, first 2 shown]
	s_wait_loadcnt_dscnt 0x0
	s_barrier_signal -1
	s_barrier_wait -1
	global_inv scope:SCOPE_SE
	ds_load_b128 v[88:91], v124
	ds_load_b128 v[76:79], v124 offset:4096
	ds_load_b128 v[92:95], v124 offset:8192
	;; [unrolled: 1-line block ×7, first 2 shown]
	s_wait_loadcnt_dscnt 0x0
	s_barrier_signal -1
	s_barrier_wait -1
	global_inv scope:SCOPE_SE
	v_add_f32_e32 v230, v15, v23
	ds_store_b128 v96, v[120:123]
	ds_store_b128 v96, v[125:128] offset:4096
	ds_store_b128 v96, v[97:100] offset:8192
	;; [unrolled: 1-line block ×7, first 2 shown]
	s_wait_loadcnt_dscnt 0x0
	s_barrier_signal -1
	s_barrier_wait -1
	global_inv scope:SCOPE_SE
	ds_load_b128 v[100:103], v124
	ds_load_b128 v[96:99], v124 offset:4096
	ds_load_b128 v[104:107], v124 offset:8192
	;; [unrolled: 1-line block ×7, first 2 shown]
	v_add_f32_e32 v219, v32, v52
	v_add_f32_e32 v221, v34, v54
	;; [unrolled: 1-line block ×4, first 2 shown]
	v_dual_add_f32 v193, v1, v5 :: v_dual_add_f32 v234, v91, v95
	v_dual_add_f32 v199, v11, v19 :: v_dual_add_f32 v232, v89, v93
	;; [unrolled: 1-line block ×5, first 2 shown]
	v_add_f32_e32 v215, v56, v60
	s_wait_dscnt 0x5
	v_dual_add_f32 v217, v58, v62 :: v_dual_add_f32 v250, v103, v107
	s_wait_dscnt 0x2
	v_dual_add_f32 v223, v28, v48 :: v_dual_add_f32 v134, v121, v117
	v_dual_add_f32 v225, v30, v50 :: v_dual_add_f32 v136, v123, v119
	v_add_f32_e32 v252, v97, v109
	v_add_f32_e32 v254, v99, v111
	s_wait_dscnt 0x0
	v_dual_add_f32 v138, v113, v125 :: v_dual_add_f32 v235, v76, v84
	v_dual_add_f32 v172, v219, v227 :: v_dual_add_f32 v245, v66, v70
	;; [unrolled: 1-line block ×8, first 2 shown]
	v_add_f32_e32 v167, v205, v207
	v_dual_add_f32 v248, v101, v105 :: v_dual_add_f32 v231, v88, v92
	v_dual_add_f32 v168, v215, v223 :: v_dual_add_f32 v241, v74, v82
	v_add_f32_e32 v169, v216, v224
	v_dual_add_f32 v253, v98, v110 :: v_dual_add_f32 v182, v237, v245
	v_dual_add_f32 v180, v235, v243 :: v_dual_add_f32 v179, v234, v242
	v_add_f32_e32 v187, v250, v136
	v_add_f32_e32 v175, v222, v230
	v_add_f32_e32 v139, v114, v126
	v_dual_add_f32 v165, v201, v203 :: v_dual_add_f32 v128, v160, v168
	v_dual_add_f32 v239, v72, v80 :: v_dual_add_f32 v178, v233, v241
	s_delay_alu instid0(VALU_DEP_3)
	v_dual_add_f32 v251, v96, v108 :: v_dual_add_f32 v190, v253, v139
	v_add_f32_e32 v177, v232, v240
	v_add_f32_e32 v181, v236, v244
	;; [unrolled: 1-line block ×9, first 2 shown]
	scratch_store_b32 off, v128, off offset:88 ; 4-byte Folded Spill
	v_dual_add_f32 v176, v231, v239 :: v_dual_add_f32 v171, v218, v226
	v_add_f32_e32 v188, v251, v137
	v_dual_add_f32 v128, v161, v169 :: v_dual_add_f32 v255, v120, v116
	v_add_f32_e32 v135, v122, v118
	scratch_store_b32 off, v128, off offset:92 ; 4-byte Folded Spill
	v_add_f32_e32 v128, v162, v170
	scratch_store_b32 off, v128, off offset:96 ; 4-byte Folded Spill
	v_dual_add_f32 v128, v163, v171 :: v_dual_add_f32 v249, v102, v106
	scratch_store_b32 off, v128, off offset:100 ; 4-byte Folded Spill
	v_add_f32_e32 v128, v164, v172
	v_dual_add_f32 v247, v100, v104 :: v_dual_add_f32 v186, v249, v135
	scratch_store_b32 off, v128, off offset:104 ; 4-byte Folded Spill
	v_add_f32_e32 v128, v165, v173
	v_add_f32_e32 v184, v247, v255
	scratch_store_b32 off, v128, off offset:76 ; 4-byte Folded Spill
	v_add_f32_e32 v128, v166, v174
	scratch_store_b32 off, v128, off offset:80 ; 4-byte Folded Spill
	;; [unrolled: 2-line block ×11, first 2 shown]
	s_and_saveexec_b32 s1, s16
	s_cbranch_execz .LBB38_34
; %bb.33:
	v_add_f32_e32 v128, v167, v175
	v_dual_add_f32 v129, v183, v191 :: v_dual_add_f32 v130, v182, v190
	v_dual_add_f32 v131, v181, v189 :: v_dual_add_f32 v132, v180, v188
	;; [unrolled: 1-line block ×3, first 2 shown]
	s_delay_alu instid0(VALU_DEP_3) | instskip(SKIP_1) | instid1(VALU_DEP_2)
	v_dual_add_f32 v128, v128, v129 :: v_dual_add_f32 v129, v166, v174
	v_add_f32_e32 v141, v178, v186
	v_add_f32_e32 v129, v129, v130
	v_dual_add_f32 v130, v165, v173 :: v_dual_add_f32 v133, v179, v187
	s_wait_kmcnt 0x0
	v_mul_f32_e32 v128, s20, v128
	s_delay_alu instid0(VALU_DEP_2) | instskip(NEXT) | instid1(VALU_DEP_2)
	v_dual_add_f32 v130, v130, v131 :: v_dual_add_f32 v131, v164, v172
	v_or_b32_e32 v145, 0x400000, v128
	v_cmp_u_f32_e64 s0, v128, v128
	s_delay_alu instid0(VALU_DEP_3) | instskip(SKIP_2) | instid1(VALU_DEP_2)
	v_add_f32_e32 v131, v131, v132
	v_dual_add_f32 v132, v163, v171 :: v_dual_mul_f32 v129, s20, v129
	v_mul_f32_e32 v130, s20, v130
	v_dual_add_f32 v132, v132, v133 :: v_dual_add_f32 v133, v162, v170
	s_delay_alu instid0(VALU_DEP_3) | instskip(SKIP_1) | instid1(VALU_DEP_4)
	v_bfe_u32 v144, v129, 16, 1
	v_or_b32_e32 v147, 0x400000, v129
	v_bfe_u32 v148, v130, 16, 1
	s_delay_alu instid0(VALU_DEP_4) | instskip(SKIP_2) | instid1(VALU_DEP_3)
	v_dual_mul_f32 v132, s20, v132 :: v_dual_add_f32 v133, v133, v141
	v_add_f32_e32 v141, v161, v169
	v_add3_u32 v144, v144, v129, 0x7fff
	v_or_b32_e32 v149, 0x400000, v132
	s_delay_alu instid0(VALU_DEP_3) | instskip(SKIP_1) | instid1(VALU_DEP_2)
	v_dual_add_f32 v141, v141, v142 :: v_dual_add_f32 v142, v160, v168
	v_mul_f32_e32 v133, s20, v133
	v_dual_mul_f32 v141, s20, v141 :: v_dual_add_f32 v142, v142, v143
	v_bfe_u32 v143, v128, 16, 1
	v_mul_f32_e32 v131, s20, v131
	s_delay_alu instid0(VALU_DEP_4) | instskip(NEXT) | instid1(VALU_DEP_4)
	v_or_b32_e32 v151, 0x400000, v133
	v_or_b32_e32 v152, 0x400000, v141
	v_mul_f32_e32 v142, s20, v142
	v_add3_u32 v143, v143, v128, 0x7fff
	s_delay_alu instid0(VALU_DEP_2) | instskip(SKIP_1) | instid1(VALU_DEP_2)
	v_bfe_u32 v150, v142, 16, 1
	s_wait_alu 0xf1ff
	v_cndmask_b32_e64 v128, v143, v145, s0
	v_cmp_u_f32_e64 s0, v129, v129
	v_bfe_u32 v143, v131, 16, 1
	v_add3_u32 v145, v148, v130, 0x7fff
	v_or_b32_e32 v148, 0x400000, v130
	v_add3_u32 v150, v150, v142, 0x7fff
	s_wait_alu 0xf1ff
	v_cndmask_b32_e64 v129, v144, v147, s0
	v_cmp_u_f32_e64 s0, v130, v130
	v_add3_u32 v143, v143, v131, 0x7fff
	v_or_b32_e32 v144, 0x400000, v131
	v_bfe_u32 v147, v132, 16, 1
	v_or_b32_e32 v153, 0x400000, v142
	s_wait_alu 0xf1ff
	v_cndmask_b32_e64 v130, v145, v148, s0
	v_cmp_u_f32_e64 s0, v131, v131
	v_bfe_u32 v145, v133, 16, 1
	v_add3_u32 v147, v147, v132, 0x7fff
	v_bfe_u32 v148, v141, 16, 1
	v_perm_b32 v131, v128, v129, 0x7060302
	s_wait_alu 0xf1ff
	v_cndmask_b32_e64 v143, v143, v144, s0
	v_cmp_u_f32_e64 s0, v132, v132
	v_add3_u32 v145, v145, v133, 0x7fff
	v_add3_u32 v148, v148, v141, 0x7fff
	s_delay_alu instid0(VALU_DEP_4) | instskip(SKIP_4) | instid1(VALU_DEP_1)
	v_perm_b32 v130, v130, v143, 0x7060302
	s_wait_alu 0xf1ff
	v_cndmask_b32_e64 v132, v147, v149, s0
	v_cmp_u_f32_e64 s0, v133, v133
	s_wait_alu 0xf1ff
	v_cndmask_b32_e64 v133, v145, v151, s0
	v_cmp_u_f32_e64 s0, v141, v141
	s_delay_alu instid0(VALU_DEP_2) | instskip(SKIP_1) | instid1(VALU_DEP_2)
	v_perm_b32 v129, v132, v133, 0x7060302
	s_wait_alu 0xf1ff
	v_cndmask_b32_e64 v141, v148, v152, s0
	v_cmp_u_f32_e64 s0, v142, v142
	s_wait_alu 0xf1ff
	s_delay_alu instid0(VALU_DEP_1) | instskip(NEXT) | instid1(VALU_DEP_1)
	v_cndmask_b32_e64 v142, v150, v153, s0
	v_perm_b32 v128, v141, v142, 0x7060302
	global_store_b128 v146, v[128:131], s[18:19]
.LBB38_34:
	s_wait_alu 0xfffe
	s_or_b32 exec_lo, exec_lo, s1
	v_dual_sub_f32 v141, v1, v5 :: v_dual_sub_f32 v142, v0, v4
	v_dual_sub_f32 v143, v8, v16 :: v_dual_sub_f32 v144, v9, v17
	;; [unrolled: 1-line block ×5, first 2 shown]
	s_delay_alu instid0(VALU_DEP_4) | instskip(SKIP_2) | instid1(VALU_DEP_4)
	v_dual_add_f32 v208, v141, v144 :: v_dual_sub_f32 v39, v39, v47
	v_dual_sub_f32 v36, v36, v44 :: v_dual_sub_f32 v43, v27, v43
	v_sub_f32_e32 v38, v38, v46
	v_dual_add_f32 v210, v145, v132 :: v_dual_sub_f32 v47, v58, v62
	v_dual_add_f32 v212, v37, v41 :: v_dual_sub_f32 v35, v35, v55
	v_dual_sub_f32 v44, v57, v61 :: v_dual_sub_f32 v51, v31, v51
	v_dual_sub_f32 v46, v59, v63 :: v_dual_sub_f32 v49, v29, v49
	v_sub_f32_e32 v34, v34, v54
	v_dual_sub_f32 v50, v30, v50 :: v_dual_sub_f32 v57, v88, v92
	v_sub_f32_e32 v54, v15, v23
	v_dual_add_f32 v146, v142, v143 :: v_dual_add_f32 v209, v128, v130
	v_dual_sub_f32 v42, v26, v42 :: v_dual_sub_f32 v45, v56, v60
	v_sub_f32_e32 v40, v24, v40
	v_dual_add_f32 v214, v39, v43 :: v_dual_sub_f32 v33, v33, v53
	v_dual_sub_f32 v32, v32, v52 :: v_dual_sub_f32 v55, v14, v22
	v_dual_sub_f32 v48, v28, v48 :: v_dual_sub_f32 v61, v77, v85
	;; [unrolled: 1-line block ×7, first 2 shown]
	v_sub_f32_e32 v71, v67, v71
	v_dual_sub_f32 v87, v78, v86 :: v_dual_sub_f32 v72, v72, v80
	v_dual_sub_f32 v131, v101, v105 :: v_dual_sub_f32 v88, v75, v83
	v_sub_f32_e32 v133, v100, v104
	v_dual_sub_f32 v64, v64, v68 :: v_dual_sub_f32 v147, v103, v107
	v_dual_sub_f32 v70, v66, v70 :: v_dual_sub_f32 v149, v97, v109
	;; [unrolled: 1-line block ×7, first 2 shown]
	v_dual_sub_f32 v158, v112, v124 :: v_dual_add_f32 v67, v46, v51
	v_dual_sub_f32 v0, v114, v126 :: v_dual_add_f32 v59, v45, v48
	v_dual_add_f32 v65, v44, v49 :: v_dual_add_f32 v66, v47, v50
	v_dual_add_f32 v76, v35, v54 :: v_dual_add_f32 v77, v57, v72
	v_add_f32_e32 v213, v38, v42
	v_add_f32_e32 v211, v36, v40
	v_dual_add_f32 v68, v32, v53 :: v_dual_add_f32 v75, v34, v55
	v_dual_add_f32 v74, v33, v52 :: v_dual_add_f32 v79, v60, v129
	;; [unrolled: 1-line block ×14, first 2 shown]
	scratch_store_b32 off, v3, off offset:136 ; 4-byte Folded Spill
	v_dual_add_f32 v12, v78, v86 :: v_dual_add_f32 v15, v81, v91
	v_dual_add_f32 v14, v80, v90 :: v_dual_add_f32 v9, v82, v92
	;; [unrolled: 1-line block ×3, first 2 shown]
	s_and_saveexec_b32 s1, s15
	s_cbranch_execz .LBB38_36
; %bb.35:
	v_dual_add_f32 v16, v4, v11 :: v_dual_add_f32 v17, v5, v12
	v_dual_add_f32 v18, v6, v13 :: v_dual_add_f32 v19, v7, v14
	v_add_f32_e32 v23, v214, v76
	s_wait_kmcnt 0x0
	s_delay_alu instid0(VALU_DEP_3) | instskip(NEXT) | instid1(VALU_DEP_3)
	v_dual_mul_f32 v16, s20, v16 :: v_dual_mul_f32 v17, s20, v17
	v_mul_f32_e32 v18, s20, v18
	v_dual_add_f32 v20, v8, v15 :: v_dual_add_f32 v21, v1, v9
	s_delay_alu instid0(VALU_DEP_3)
	v_bfe_u32 v24, v16, 16, 1
	v_mul_f32_e32 v19, s20, v19
	v_or_b32_e32 v26, 0x400000, v16
	v_bfe_u32 v27, v18, 16, 1
	v_cmp_u_f32_e64 s0, v16, v16
	v_add3_u32 v24, v24, v16, 0x7fff
	v_dual_add_f32 v22, v2, v10 :: v_dual_add_f32 v23, v23, v3
	v_mul_f32_e32 v20, s20, v20
	v_bfe_u32 v28, v19, 16, 1
	s_wait_alu 0xf1ff
	v_cndmask_b32_e64 v16, v24, v26, s0
	v_add3_u32 v26, v27, v18, 0x7fff
	v_or_b32_e32 v27, 0x400000, v18
	v_cmp_u_f32_e64 s0, v18, v18
	v_add3_u32 v28, v28, v19, 0x7fff
	v_or_b32_e32 v29, 0x400000, v19
	v_bfe_u32 v18, v20, 16, 1
	v_bfe_u32 v25, v17, 16, 1
	s_wait_alu 0xf1ff
	v_cndmask_b32_e64 v26, v26, v27, s0
	v_cmp_u_f32_e64 s0, v19, v19
	v_mul_f32_e32 v19, s20, v21
	v_dual_mul_f32 v21, s20, v22 :: v_dual_mul_f32 v22, s20, v23
	v_add3_u32 v18, v18, v20, 0x7fff
	s_wait_alu 0xf1ff
	v_cndmask_b32_e64 v27, v28, v29, s0
	v_or_b32_e32 v23, 0x400000, v20
	v_bfe_u32 v28, v19, 16, 1
	v_bfe_u32 v29, v21, 16, 1
	v_cmp_u_f32_e64 s0, v20, v20
	v_bfe_u32 v30, v22, 16, 1
	v_or_b32_e32 v31, 0x400000, v19
	v_add3_u32 v20, v28, v19, 0x7fff
	v_or_b32_e32 v28, 0x400000, v21
	s_wait_alu 0xf1ff
	v_cndmask_b32_e64 v18, v18, v23, s0
	v_add3_u32 v23, v29, v21, 0x7fff
	v_cmp_u_f32_e64 s0, v21, v21
	v_add3_u32 v29, v30, v22, 0x7fff
	v_or_b32_e32 v30, 0x400000, v22
	v_add3_u32 v25, v25, v17, 0x7fff
	v_or_b32_e32 v24, 0x400000, v17
	s_wait_alu 0xf1ff
	v_cndmask_b32_e64 v21, v23, v28, s0
	v_cmp_u_f32_e64 s0, v22, v22
	s_wait_alu 0xf1ff
	s_delay_alu instid0(VALU_DEP_1) | instskip(SKIP_1) | instid1(VALU_DEP_2)
	v_cndmask_b32_e64 v22, v29, v30, s0
	v_cmp_u_f32_e64 s0, v19, v19
	v_perm_b32 v19, v22, v21, 0x7060302
	s_wait_alu 0xf1ff
	s_delay_alu instid0(VALU_DEP_2) | instskip(SKIP_2) | instid1(VALU_DEP_3)
	v_cndmask_b32_e64 v20, v20, v31, s0
	v_cmp_u_f32_e64 s0, v17, v17
	v_perm_b32 v17, v27, v26, 0x7060302
	v_perm_b32 v18, v20, v18, 0x7060302
	scratch_load_b32 v20, off, off offset:68 th:TH_LOAD_LU ; 4-byte Folded Reload
	s_wait_alu 0xf1ff
	v_cndmask_b32_e64 v23, v25, v24, s0
	s_delay_alu instid0(VALU_DEP_1)
	v_perm_b32 v16, v23, v16, 0x7060302
	s_wait_loadcnt 0x0
	global_store_b128 v20, v[16:19], s[18:19]
.LBB38_36:
	s_wait_alu 0xfffe
	s_or_b32 exec_lo, exec_lo, s1
	v_dual_sub_f32 v95, v192, v194 :: v_dual_sub_f32 v96, v193, v195
	v_dual_sub_f32 v97, v196, v197 :: v_dual_sub_f32 v98, v198, v199
	;; [unrolled: 1-line block ×16, first 2 shown]
	v_dual_add_f32 v20, v95, v103 :: v_dual_add_f32 v21, v96, v104
	v_dual_add_f32 v22, v97, v105 :: v_dual_add_f32 v23, v98, v106
	;; [unrolled: 1-line block ×8, first 2 shown]
	s_and_saveexec_b32 s1, s14
	s_cbranch_execz .LBB38_38
; %bb.37:
	v_dual_add_f32 v127, v20, v27 :: v_dual_add_f32 v134, v21, v28
	v_dual_add_f32 v135, v22, v29 :: v_dual_add_f32 v136, v23, v30
	;; [unrolled: 1-line block ×3, first 2 shown]
	s_wait_kmcnt 0x0
	s_delay_alu instid0(VALU_DEP_3) | instskip(NEXT) | instid1(VALU_DEP_3)
	v_dual_mul_f32 v127, s20, v127 :: v_dual_mul_f32 v134, s20, v134
	v_dual_mul_f32 v135, s20, v135 :: v_dual_mul_f32 v136, s20, v136
	v_dual_add_f32 v139, v18, v26 :: v_dual_add_f32 v140, v16, v19
	s_delay_alu instid0(VALU_DEP_3) | instskip(SKIP_1) | instid1(VALU_DEP_4)
	v_bfe_u32 v192, v127, 16, 1
	v_or_b32_e32 v194, 0x400000, v127
	v_bfe_u32 v195, v135, 16, 1
	v_cmp_u_f32_e64 s0, v127, v127
	v_bfe_u32 v196, v136, 16, 1
	v_add3_u32 v192, v192, v127, 0x7fff
	v_mul_f32_e32 v137, s20, v137
	v_or_b32_e32 v197, 0x400000, v136
	v_bfe_u32 v193, v134, 16, 1
	v_add3_u32 v196, v196, v136, 0x7fff
	s_wait_alu 0xf1ff
	v_cndmask_b32_e64 v127, v192, v194, s0
	v_add3_u32 v194, v195, v135, 0x7fff
	v_or_b32_e32 v195, 0x400000, v135
	v_cmp_u_f32_e64 s0, v135, v135
	v_add3_u32 v193, v193, v134, 0x7fff
	v_or_b32_e32 v192, 0x400000, v134
	s_wait_alu 0xf1ff
	s_delay_alu instid0(VALU_DEP_3)
	v_cndmask_b32_e64 v135, v194, v195, s0
	v_cmp_u_f32_e64 s0, v136, v136
	v_mul_f32_e32 v136, s20, v138
	v_bfe_u32 v194, v137, 16, 1
	v_dual_mul_f32 v138, s20, v139 :: v_dual_mul_f32 v139, s20, v140
	s_wait_alu 0xf1ff
	v_cndmask_b32_e64 v195, v196, v197, s0
	v_bfe_u32 v196, v136, 16, 1
	v_add3_u32 v140, v194, v137, 0x7fff
	v_or_b32_e32 v194, 0x400000, v137
	v_bfe_u32 v197, v138, 16, 1
	v_cmp_u_f32_e64 s0, v137, v137
	v_bfe_u32 v198, v139, 16, 1
	v_add3_u32 v137, v196, v136, 0x7fff
	v_or_b32_e32 v196, 0x400000, v138
	v_or_b32_e32 v199, 0x400000, v136
	s_wait_alu 0xf1ff
	v_cndmask_b32_e64 v140, v140, v194, s0
	v_add3_u32 v194, v197, v138, 0x7fff
	v_cmp_u_f32_e64 s0, v138, v138
	v_add3_u32 v197, v198, v139, 0x7fff
	v_or_b32_e32 v198, 0x400000, v139
	v_perm_b32 v135, v195, v135, 0x7060302
	s_wait_alu 0xf1ff
	v_cndmask_b32_e64 v138, v194, v196, s0
	v_cmp_u_f32_e64 s0, v139, v139
	s_wait_alu 0xf1ff
	s_delay_alu instid0(VALU_DEP_1) | instskip(SKIP_2) | instid1(VALU_DEP_1)
	v_cndmask_b32_e64 v139, v197, v198, s0
	v_cmp_u_f32_e64 s0, v136, v136
	s_wait_alu 0xf1ff
	v_cndmask_b32_e64 v136, v137, v199, s0
	v_cmp_u_f32_e64 s0, v134, v134
	v_perm_b32 v137, v139, v138, 0x7060302
	s_delay_alu instid0(VALU_DEP_3) | instskip(SKIP_1) | instid1(VALU_DEP_3)
	v_perm_b32 v136, v136, v140, 0x7060302
	s_wait_alu 0xf1ff
	v_cndmask_b32_e64 v134, v193, v192, s0
	s_delay_alu instid0(VALU_DEP_1)
	v_perm_b32 v134, v134, v127, 0x7060302
	scratch_load_b32 v127, off, off offset:64 th:TH_LOAD_LU ; 4-byte Folded Reload
	s_wait_loadcnt 0x0
	global_store_b128 v127, v[134:137], s[18:19]
.LBB38_38:
	s_wait_alu 0xfffe
	s_or_b32 exec_lo, exec_lo, s1
	v_dual_sub_f32 v127, v141, v144 :: v_dual_sub_f32 v144, v142, v143
	v_dual_sub_f32 v145, v145, v132 :: v_dual_sub_f32 v192, v128, v130
	;; [unrolled: 1-line block ×15, first 2 shown]
	v_dual_sub_f32 v225, v150, v158 :: v_dual_add_f32 v38, v192, v200
	v_dual_sub_f32 v227, v152, v0 :: v_dual_add_f32 v40, v194, v202
	v_dual_add_f32 v36, v144, v198 :: v_dual_add_f32 v37, v127, v197
	v_dual_add_f32 v39, v145, v199 :: v_dual_add_f32 v34, v196, v204
	;; [unrolled: 1-line block ×7, first 2 shown]
	s_and_saveexec_b32 s1, s13
	s_cbranch_execz .LBB38_40
; %bb.39:
	v_dual_add_f32 v0, v36, v44 :: v_dual_add_f32 v43, v37, v45
	v_dual_add_f32 v49, v38, v46 :: v_dual_add_f32 v50, v39, v47
	v_add_f32_e32 v54, v32, v35
	s_wait_kmcnt 0x0
	s_delay_alu instid0(VALU_DEP_3) | instskip(NEXT) | instid1(VALU_DEP_3)
	v_dual_mul_f32 v0, s20, v0 :: v_dual_add_f32 v53, v34, v42
	v_mul_f32_e32 v49, s20, v49
	v_dual_add_f32 v51, v40, v48 :: v_dual_add_f32 v52, v33, v41
	s_delay_alu instid0(VALU_DEP_3) | instskip(SKIP_3) | instid1(VALU_DEP_4)
	v_bfe_u32 v55, v0, 16, 1
	v_dual_mul_f32 v43, s20, v43 :: v_dual_mul_f32 v50, s20, v50
	v_or_b32_e32 v57, 0x400000, v0
	v_bfe_u32 v58, v49, 16, 1
	v_add3_u32 v55, v55, v0, 0x7fff
	v_cmp_u_f32_e64 s0, v0, v0
	v_bfe_u32 v60, v50, 16, 1
	v_dual_mul_f32 v51, s20, v51 :: v_dual_mul_f32 v52, s20, v52
	v_or_b32_e32 v61, 0x400000, v50
	s_wait_alu 0xf1ff
	v_cndmask_b32_e64 v0, v55, v57, s0
	v_add3_u32 v57, v58, v49, 0x7fff
	v_or_b32_e32 v58, 0x400000, v49
	v_cmp_u_f32_e64 s0, v49, v49
	v_add3_u32 v60, v60, v50, 0x7fff
	v_dual_mul_f32 v53, s20, v53 :: v_dual_mul_f32 v54, s20, v54
	v_bfe_u32 v56, v43, 16, 1
	s_wait_alu 0xf1ff
	v_cndmask_b32_e64 v49, v57, v58, s0
	v_bfe_u32 v57, v51, 16, 1
	v_cmp_u_f32_e64 s0, v50, v50
	v_or_b32_e32 v58, 0x400000, v51
	v_bfe_u32 v62, v54, 16, 1
	v_or_b32_e32 v63, 0x400000, v52
	v_add3_u32 v57, v57, v51, 0x7fff
	s_wait_alu 0xf1ff
	v_cndmask_b32_e64 v50, v60, v61, s0
	v_bfe_u32 v60, v52, 16, 1
	v_bfe_u32 v61, v53, 16, 1
	v_cmp_u_f32_e64 s0, v51, v51
	v_add3_u32 v56, v56, v43, 0x7fff
	v_or_b32_e32 v55, 0x400000, v43
	v_perm_b32 v50, v50, v49, 0x7060302
	s_wait_alu 0xf1ff
	v_cndmask_b32_e64 v51, v57, v58, s0
	v_add3_u32 v57, v60, v52, 0x7fff
	v_add3_u32 v58, v61, v53, 0x7fff
	v_or_b32_e32 v60, 0x400000, v53
	v_cmp_u_f32_e64 s0, v53, v53
	v_add3_u32 v61, v62, v54, 0x7fff
	v_or_b32_e32 v62, 0x400000, v54
	s_wait_alu 0xf1ff
	s_delay_alu instid0(VALU_DEP_3) | instskip(SKIP_2) | instid1(VALU_DEP_1)
	v_cndmask_b32_e64 v53, v58, v60, s0
	v_cmp_u_f32_e64 s0, v54, v54
	s_wait_alu 0xf1ff
	v_cndmask_b32_e64 v54, v61, v62, s0
	v_cmp_u_f32_e64 s0, v52, v52
	s_delay_alu instid0(VALU_DEP_2) | instskip(SKIP_1) | instid1(VALU_DEP_2)
	v_perm_b32 v52, v54, v53, 0x7060302
	s_wait_alu 0xf1ff
	v_cndmask_b32_e64 v57, v57, v63, s0
	v_cmp_u_f32_e64 s0, v43, v43
	s_delay_alu instid0(VALU_DEP_2) | instskip(SKIP_1) | instid1(VALU_DEP_2)
	v_perm_b32 v51, v57, v51, 0x7060302
	s_wait_alu 0xf1ff
	v_cndmask_b32_e64 v43, v56, v55, s0
	s_delay_alu instid0(VALU_DEP_1)
	v_perm_b32 v49, v43, v0, 0x7060302
	scratch_load_b32 v0, off, off offset:60 th:TH_LOAD_LU ; 4-byte Folded Reload
	s_wait_loadcnt 0x0
	global_store_b128 v0, v[49:52], s[18:19]
.LBB38_40:
	s_wait_alu 0xfffe
	s_or_b32 exec_lo, exec_lo, s1
	v_dual_sub_f32 v52, v160, v168 :: v_dual_sub_f32 v53, v161, v169
	v_dual_sub_f32 v54, v162, v170 :: v_dual_sub_f32 v55, v163, v171
	;; [unrolled: 1-line block ×8, first 2 shown]
	s_and_saveexec_b32 s1, s12
	s_cbranch_execz .LBB38_42
; %bb.41:
	v_dual_add_f32 v0, v52, v60 :: v_dual_add_f32 v69, v53, v61
	v_dual_add_f32 v70, v54, v62 :: v_dual_add_f32 v71, v55, v63
	;; [unrolled: 1-line block ×3, first 2 shown]
	s_wait_kmcnt 0x0
	s_delay_alu instid0(VALU_DEP_3) | instskip(NEXT) | instid1(VALU_DEP_3)
	v_dual_mul_f32 v0, s20, v0 :: v_dual_add_f32 v87, v50, v58
	v_dual_mul_f32 v70, s20, v70 :: v_dual_mul_f32 v71, s20, v71
	s_delay_alu instid0(VALU_DEP_3) | instskip(NEXT) | instid1(VALU_DEP_3)
	v_mul_f32_e32 v72, s20, v72
	v_bfe_u32 v128, v0, 16, 1
	v_or_b32_e32 v130, 0x400000, v0
	s_delay_alu instid0(VALU_DEP_4)
	v_bfe_u32 v131, v70, 16, 1
	v_cmp_u_f32_e64 s0, v0, v0
	v_bfe_u32 v132, v71, 16, 1
	v_add3_u32 v128, v128, v0, 0x7fff
	v_dual_mul_f32 v69, s20, v69 :: v_dual_add_f32 v88, v43, v51
	v_or_b32_e32 v133, 0x400000, v71
	s_delay_alu instid0(VALU_DEP_4)
	v_add3_u32 v132, v132, v71, 0x7fff
	s_wait_alu 0xf1ff
	v_cndmask_b32_e64 v0, v128, v130, s0
	v_add3_u32 v130, v131, v70, 0x7fff
	v_or_b32_e32 v131, 0x400000, v70
	v_cmp_u_f32_e64 s0, v70, v70
	v_bfe_u32 v129, v69, 16, 1
	v_or_b32_e32 v128, 0x400000, v69
	s_wait_alu 0xf1ff
	s_delay_alu instid0(VALU_DEP_3)
	v_cndmask_b32_e64 v70, v130, v131, s0
	v_cmp_u_f32_e64 s0, v71, v71
	v_mul_f32_e32 v71, s20, v73
	v_bfe_u32 v130, v72, 16, 1
	v_mul_f32_e32 v73, s20, v87
	v_mul_f32_e32 v87, s20, v88
	s_wait_alu 0xf1ff
	v_cndmask_b32_e64 v131, v132, v133, s0
	v_bfe_u32 v132, v71, 16, 1
	v_add3_u32 v88, v130, v72, 0x7fff
	v_or_b32_e32 v130, 0x400000, v72
	v_bfe_u32 v133, v73, 16, 1
	v_cmp_u_f32_e64 s0, v72, v72
	v_bfe_u32 v134, v87, 16, 1
	v_add3_u32 v72, v132, v71, 0x7fff
	v_or_b32_e32 v132, 0x400000, v73
	v_or_b32_e32 v135, 0x400000, v71
	s_wait_alu 0xf1ff
	v_cndmask_b32_e64 v88, v88, v130, s0
	v_add3_u32 v130, v133, v73, 0x7fff
	v_cmp_u_f32_e64 s0, v73, v73
	v_add3_u32 v133, v134, v87, 0x7fff
	v_or_b32_e32 v134, 0x400000, v87
	v_add3_u32 v129, v129, v69, 0x7fff
	v_perm_b32 v70, v131, v70, 0x7060302
	s_wait_alu 0xf1ff
	v_cndmask_b32_e64 v73, v130, v132, s0
	v_cmp_u_f32_e64 s0, v87, v87
	s_wait_alu 0xf1ff
	s_delay_alu instid0(VALU_DEP_1) | instskip(SKIP_2) | instid1(VALU_DEP_1)
	v_cndmask_b32_e64 v87, v133, v134, s0
	v_cmp_u_f32_e64 s0, v71, v71
	s_wait_alu 0xf1ff
	v_cndmask_b32_e64 v71, v72, v135, s0
	v_cmp_u_f32_e64 s0, v69, v69
	v_perm_b32 v72, v87, v73, 0x7060302
	s_delay_alu instid0(VALU_DEP_3) | instskip(SKIP_1) | instid1(VALU_DEP_3)
	v_perm_b32 v71, v71, v88, 0x7060302
	s_wait_alu 0xf1ff
	v_cndmask_b32_e64 v69, v129, v128, s0
	s_delay_alu instid0(VALU_DEP_1)
	v_perm_b32 v69, v69, v0, 0x7060302
	scratch_load_b32 v0, off, off offset:56 th:TH_LOAD_LU ; 4-byte Folded Reload
	s_wait_loadcnt 0x0
	global_store_b128 v0, v[69:72], s[18:19]
.LBB38_42:
	s_wait_alu 0xfffe
	s_or_b32 exec_lo, exec_lo, s1
	v_dual_sub_f32 v69, v146, v59 :: v_dual_sub_f32 v70, v208, v65
	v_dual_sub_f32 v71, v209, v66 :: v_dual_sub_f32 v72, v210, v67
	;; [unrolled: 1-line block ×7, first 2 shown]
	v_sub_f32_e32 v91, v81, v91
	v_sub_f32_e32 v79, v83, v93
	s_and_saveexec_b32 s1, s11
	s_cbranch_execz .LBB38_44
; %bb.43:
	v_dual_add_f32 v0, v69, v87 :: v_dual_add_f32 v65, v70, v88
	v_dual_add_f32 v74, v71, v89 :: v_dual_add_f32 v75, v72, v90
	v_add_f32_e32 v81, v59, v68
	s_wait_kmcnt 0x0
	s_delay_alu instid0(VALU_DEP_3) | instskip(NEXT) | instid1(VALU_DEP_3)
	v_dual_mul_f32 v0, s20, v0 :: v_dual_mul_f32 v65, s20, v65
	v_mul_f32_e32 v74, s20, v74
	v_dual_add_f32 v76, v73, v91 :: v_dual_add_f32 v77, v66, v78
	s_delay_alu instid0(VALU_DEP_3)
	v_bfe_u32 v82, v0, 16, 1
	v_mul_f32_e32 v75, s20, v75
	v_or_b32_e32 v84, 0x400000, v0
	v_bfe_u32 v85, v74, 16, 1
	v_cmp_u_f32_e64 s0, v0, v0
	v_add3_u32 v82, v82, v0, 0x7fff
	v_dual_add_f32 v80, v67, v79 :: v_dual_mul_f32 v77, s20, v77
	v_mul_f32_e32 v76, s20, v76
	v_bfe_u32 v86, v75, 16, 1
	s_wait_alu 0xf1ff
	v_cndmask_b32_e64 v0, v82, v84, s0
	v_add3_u32 v84, v85, v74, 0x7fff
	v_or_b32_e32 v85, 0x400000, v74
	v_cmp_u_f32_e64 s0, v74, v74
	v_add3_u32 v86, v86, v75, 0x7fff
	v_or_b32_e32 v92, 0x400000, v75
	v_dual_mul_f32 v80, s20, v80 :: v_dual_mul_f32 v81, s20, v81
	s_wait_alu 0xf1ff
	v_cndmask_b32_e64 v74, v84, v85, s0
	v_bfe_u32 v84, v76, 16, 1
	v_cmp_u_f32_e64 s0, v75, v75
	v_or_b32_e32 v85, 0x400000, v76
	v_bfe_u32 v93, v81, 16, 1
	v_bfe_u32 v83, v65, 16, 1
	v_add3_u32 v84, v84, v76, 0x7fff
	s_wait_alu 0xf1ff
	v_cndmask_b32_e64 v75, v86, v92, s0
	v_bfe_u32 v86, v77, 16, 1
	v_bfe_u32 v92, v80, 16, 1
	v_cmp_u_f32_e64 s0, v76, v76
	v_or_b32_e32 v94, 0x400000, v77
	v_add3_u32 v83, v83, v65, 0x7fff
	v_or_b32_e32 v82, 0x400000, v65
	v_perm_b32 v75, v75, v74, 0x7060302
	s_wait_alu 0xf1ff
	v_cndmask_b32_e64 v76, v84, v85, s0
	v_add3_u32 v84, v86, v77, 0x7fff
	v_add3_u32 v85, v92, v80, 0x7fff
	v_or_b32_e32 v86, 0x400000, v80
	v_cmp_u_f32_e64 s0, v80, v80
	v_add3_u32 v92, v93, v81, 0x7fff
	v_or_b32_e32 v93, 0x400000, v81
	s_wait_alu 0xf1ff
	s_delay_alu instid0(VALU_DEP_3) | instskip(SKIP_2) | instid1(VALU_DEP_1)
	v_cndmask_b32_e64 v80, v85, v86, s0
	v_cmp_u_f32_e64 s0, v81, v81
	s_wait_alu 0xf1ff
	v_cndmask_b32_e64 v81, v92, v93, s0
	v_cmp_u_f32_e64 s0, v77, v77
	s_delay_alu instid0(VALU_DEP_2) | instskip(SKIP_1) | instid1(VALU_DEP_2)
	v_perm_b32 v77, v81, v80, 0x7060302
	s_wait_alu 0xf1ff
	v_cndmask_b32_e64 v84, v84, v94, s0
	v_cmp_u_f32_e64 s0, v65, v65
	s_delay_alu instid0(VALU_DEP_2) | instskip(SKIP_1) | instid1(VALU_DEP_2)
	v_perm_b32 v76, v84, v76, 0x7060302
	s_wait_alu 0xf1ff
	v_cndmask_b32_e64 v65, v83, v82, s0
	s_delay_alu instid0(VALU_DEP_1)
	v_perm_b32 v74, v65, v0, 0x7060302
	scratch_load_b32 v0, off, off offset:52 th:TH_LOAD_LU ; 4-byte Folded Reload
	s_wait_loadcnt 0x0
	global_store_b128 v0, v[74:77], s[18:19]
.LBB38_44:
	s_wait_alu 0xfffe
	s_or_b32 exec_lo, exec_lo, s1
	v_dual_sub_f32 v81, v95, v103 :: v_dual_sub_f32 v82, v96, v104
	v_dual_sub_f32 v83, v97, v105 :: v_dual_sub_f32 v84, v98, v106
	;; [unrolled: 1-line block ×3, first 2 shown]
	v_sub_f32_e32 v75, v101, v109
	v_dual_sub_f32 v65, v102, v110 :: v_dual_sub_f32 v92, v116, v124
	v_dual_sub_f32 v101, v111, v119 :: v_dual_sub_f32 v104, v114, v122
	;; [unrolled: 1-line block ×4, first 2 shown]
	v_sub_f32_e32 v93, v117, v125
	s_and_saveexec_b32 s1, s10
	s_cbranch_execz .LBB38_46
; %bb.45:
	v_dual_add_f32 v0, v81, v101 :: v_dual_add_f32 v77, v82, v102
	v_dual_add_f32 v80, v83, v103 :: v_dual_add_f32 v95, v74, v92
	;; [unrolled: 1-line block ×3, first 2 shown]
	s_wait_kmcnt 0x0
	s_delay_alu instid0(VALU_DEP_3) | instskip(SKIP_1) | instid1(VALU_DEP_3)
	v_mul_f32_e32 v0, s20, v0
	v_dual_add_f32 v86, v84, v104 :: v_dual_mul_f32 v77, s20, v77
	v_dual_mul_f32 v80, s20, v80 :: v_dual_mul_f32 v97, s20, v97
	s_delay_alu instid0(VALU_DEP_3) | instskip(SKIP_1) | instid1(VALU_DEP_4)
	v_bfe_u32 v98, v0, 16, 1
	v_dual_add_f32 v94, v85, v105 :: v_dual_mul_f32 v95, s20, v95
	v_mul_f32_e32 v86, s20, v86
	v_or_b32_e32 v100, 0x400000, v0
	s_delay_alu instid0(VALU_DEP_4)
	v_add3_u32 v98, v98, v0, 0x7fff
	v_bfe_u32 v106, v80, 16, 1
	v_cmp_u_f32_e64 s0, v0, v0
	v_bfe_u32 v107, v86, 16, 1
	v_mul_f32_e32 v94, s20, v94
	v_or_b32_e32 v108, 0x400000, v86
	v_mul_f32_e32 v96, s20, v96
	s_wait_alu 0xf1ff
	v_cndmask_b32_e64 v0, v98, v100, s0
	v_add3_u32 v100, v106, v80, 0x7fff
	v_or_b32_e32 v106, 0x400000, v80
	v_cmp_u_f32_e64 s0, v80, v80
	v_add3_u32 v107, v107, v86, 0x7fff
	v_bfe_u32 v109, v97, 16, 1
	v_bfe_u32 v99, v77, 16, 1
	v_or_b32_e32 v110, 0x400000, v95
	s_wait_alu 0xf1ff
	v_cndmask_b32_e64 v80, v100, v106, s0
	v_bfe_u32 v100, v94, 16, 1
	v_cmp_u_f32_e64 s0, v86, v86
	v_or_b32_e32 v106, 0x400000, v94
	v_add3_u32 v99, v99, v77, 0x7fff
	v_or_b32_e32 v98, 0x400000, v77
	v_add3_u32 v100, v100, v94, 0x7fff
	s_wait_alu 0xf1ff
	v_cndmask_b32_e64 v86, v107, v108, s0
	v_bfe_u32 v107, v95, 16, 1
	v_bfe_u32 v108, v96, 16, 1
	v_cmp_u_f32_e64 s0, v94, v94
	s_wait_alu 0xf1ff
	s_delay_alu instid0(VALU_DEP_1)
	v_cndmask_b32_e64 v94, v100, v106, s0
	v_add3_u32 v100, v107, v95, 0x7fff
	v_add3_u32 v106, v108, v96, 0x7fff
	v_or_b32_e32 v107, 0x400000, v96
	v_cmp_u_f32_e64 s0, v96, v96
	v_add3_u32 v108, v109, v97, 0x7fff
	v_or_b32_e32 v109, 0x400000, v97
	s_wait_alu 0xf1ff
	s_delay_alu instid0(VALU_DEP_3) | instskip(SKIP_2) | instid1(VALU_DEP_1)
	v_cndmask_b32_e64 v96, v106, v107, s0
	v_cmp_u_f32_e64 s0, v97, v97
	s_wait_alu 0xf1ff
	v_cndmask_b32_e64 v97, v108, v109, s0
	v_cmp_u_f32_e64 s0, v95, v95
	s_delay_alu instid0(VALU_DEP_2) | instskip(SKIP_1) | instid1(VALU_DEP_2)
	v_perm_b32 v97, v97, v96, 0x7060302
	s_wait_alu 0xf1ff
	v_cndmask_b32_e64 v95, v100, v110, s0
	v_cmp_u_f32_e64 s0, v77, v77
	s_delay_alu instid0(VALU_DEP_2) | instskip(SKIP_1) | instid1(VALU_DEP_2)
	v_perm_b32 v96, v95, v94, 0x7060302
	s_wait_alu 0xf1ff
	v_cndmask_b32_e64 v77, v99, v98, s0
	v_perm_b32 v95, v86, v80, 0x7060302
	s_delay_alu instid0(VALU_DEP_2)
	v_perm_b32 v94, v77, v0, 0x7060302
	scratch_load_b32 v0, off, off offset:48 th:TH_LOAD_LU ; 4-byte Folded Reload
	s_wait_loadcnt 0x0
	global_store_b128 v0, v[94:97], s[18:19]
.LBB38_46:
	s_wait_alu 0xfffe
	s_or_b32 exec_lo, exec_lo, s1
	v_dual_sub_f32 v94, v127, v197 :: v_dual_sub_f32 v95, v145, v199
	v_dual_sub_f32 v96, v144, v198 :: v_dual_sub_f32 v77, v195, v203
	;; [unrolled: 1-line block ×7, first 2 shown]
	v_sub_f32_e32 v100, v216, v224
	v_sub_f32_e32 v106, v219, v227
	s_and_saveexec_b32 s1, s9
	s_cbranch_execnz .LBB38_56
; %bb.47:
	s_wait_alu 0xfffe
	s_or_b32 exec_lo, exec_lo, s1
	s_and_saveexec_b32 s1, s8
	s_cbranch_execnz .LBB38_57
.LBB38_48:
	s_wait_alu 0xfffe
	s_or_b32 exec_lo, exec_lo, s1
	s_and_saveexec_b32 s1, s7
	s_cbranch_execnz .LBB38_58
.LBB38_49:
	s_wait_alu 0xfffe
	s_or_b32 exec_lo, exec_lo, s1
	s_and_saveexec_b32 s1, s6
	s_cbranch_execnz .LBB38_59
.LBB38_50:
	s_wait_alu 0xfffe
	s_or_b32 exec_lo, exec_lo, s1
	s_and_saveexec_b32 s1, s5
	s_cbranch_execnz .LBB38_60
.LBB38_51:
	s_wait_alu 0xfffe
	s_or_b32 exec_lo, exec_lo, s1
	s_and_saveexec_b32 s1, s4
	s_cbranch_execnz .LBB38_61
.LBB38_52:
	s_wait_alu 0xfffe
	s_or_b32 exec_lo, exec_lo, s1
	s_and_saveexec_b32 s1, s3
	s_cbranch_execnz .LBB38_62
.LBB38_53:
	s_wait_alu 0xfffe
	s_or_b32 exec_lo, exec_lo, s1
	s_and_saveexec_b32 s1, s2
	s_cbranch_execnz .LBB38_63
.LBB38_54:
	s_wait_alu 0xfffe
	s_or_b32 exec_lo, exec_lo, s1
	s_and_saveexec_b32 s0, vcc_lo
	s_cbranch_execnz .LBB38_64
.LBB38_55:
	s_nop 0
	s_sendmsg sendmsg(MSG_DEALLOC_VGPRS)
	s_endpgm
.LBB38_56:
	v_dual_add_f32 v0, v96, v109 :: v_dual_add_f32 v113, v97, v110
	v_add_f32_e32 v112, v94, v107
	v_dual_add_f32 v114, v95, v108 :: v_dual_add_f32 v115, v98, v111
	s_wait_kmcnt 0x0
	s_delay_alu instid0(VALU_DEP_3) | instskip(NEXT) | instid1(VALU_DEP_2)
	v_dual_mul_f32 v0, s20, v0 :: v_dual_add_f32 v117, v86, v106
	v_dual_mul_f32 v113, s20, v113 :: v_dual_mul_f32 v114, s20, v114
	s_delay_alu instid0(VALU_DEP_3) | instskip(NEXT) | instid1(VALU_DEP_3)
	v_dual_add_f32 v116, v80, v100 :: v_dual_mul_f32 v115, s20, v115
	v_bfe_u32 v119, v0, 16, 1
	v_or_b32_e32 v121, 0x400000, v0
	s_delay_alu instid0(VALU_DEP_4)
	v_bfe_u32 v122, v113, 16, 1
	v_cmp_u_f32_e64 s0, v0, v0
	v_bfe_u32 v123, v114, 16, 1
	v_add3_u32 v119, v119, v0, 0x7fff
	v_add_f32_e32 v118, v77, v99
	v_or_b32_e32 v124, 0x400000, v114
	v_mul_f32_e32 v112, s20, v112
	v_add3_u32 v123, v123, v114, 0x7fff
	s_wait_alu 0xf1ff
	v_cndmask_b32_e64 v0, v119, v121, s0
	v_add3_u32 v121, v122, v113, 0x7fff
	v_or_b32_e32 v122, 0x400000, v113
	v_cmp_u_f32_e64 s0, v113, v113
	s_wait_alu 0xf1ff
	s_delay_alu instid0(VALU_DEP_1) | instskip(SKIP_4) | instid1(VALU_DEP_4)
	v_cndmask_b32_e64 v113, v121, v122, s0
	v_bfe_u32 v121, v115, 16, 1
	v_cmp_u_f32_e64 s0, v114, v114
	v_mul_f32_e32 v114, s20, v116
	v_dual_mul_f32 v116, s20, v117 :: v_dual_mul_f32 v117, s20, v118
	v_add3_u32 v118, v121, v115, 0x7fff
	s_wait_alu 0xf1ff
	v_cndmask_b32_e64 v122, v123, v124, s0
	v_or_b32_e32 v121, 0x400000, v115
	v_bfe_u32 v123, v114, 16, 1
	v_bfe_u32 v124, v116, 16, 1
	v_cmp_u_f32_e64 s0, v115, v115
	v_bfe_u32 v125, v117, 16, 1
	v_bfe_u32 v120, v112, 16, 1
	v_add3_u32 v115, v123, v114, 0x7fff
	v_or_b32_e32 v123, 0x400000, v116
	s_wait_alu 0xf1ff
	v_cndmask_b32_e64 v118, v118, v121, s0
	v_add3_u32 v121, v124, v116, 0x7fff
	v_cmp_u_f32_e64 s0, v116, v116
	v_add3_u32 v124, v125, v117, 0x7fff
	v_or_b32_e32 v125, 0x400000, v117
	v_or_b32_e32 v126, 0x400000, v114
	v_add3_u32 v120, v120, v112, 0x7fff
	s_wait_alu 0xf1ff
	v_cndmask_b32_e64 v116, v121, v123, s0
	v_cmp_u_f32_e64 s0, v117, v117
	v_or_b32_e32 v119, 0x400000, v112
	v_perm_b32 v113, v122, v113, 0x7060302
	s_wait_alu 0xf1ff
	s_delay_alu instid0(VALU_DEP_3) | instskip(SKIP_2) | instid1(VALU_DEP_1)
	v_cndmask_b32_e64 v117, v124, v125, s0
	v_cmp_u_f32_e64 s0, v114, v114
	s_wait_alu 0xf1ff
	v_cndmask_b32_e64 v114, v115, v126, s0
	v_cmp_u_f32_e64 s0, v112, v112
	v_perm_b32 v115, v117, v116, 0x7060302
	s_delay_alu instid0(VALU_DEP_3) | instskip(SKIP_1) | instid1(VALU_DEP_3)
	v_perm_b32 v114, v114, v118, 0x7060302
	s_wait_alu 0xf1ff
	v_cndmask_b32_e64 v112, v120, v119, s0
	s_delay_alu instid0(VALU_DEP_1)
	v_perm_b32 v112, v112, v0, 0x7060302
	scratch_load_b32 v0, off, off offset:44 th:TH_LOAD_LU ; 4-byte Folded Reload
	s_wait_loadcnt 0x0
	global_store_b128 v0, v[112:115], s[18:19]
	s_wait_alu 0xfffe
	s_or_b32 exec_lo, exec_lo, s1
	s_and_saveexec_b32 s1, s8
	s_cbranch_execz .LBB38_48
.LBB38_57:
	s_clause 0x1
	scratch_load_b32 v0, off, off offset:88 th:TH_LOAD_LU
	scratch_load_b32 v112, off, off offset:116 th:TH_LOAD_LU
	s_wait_loadcnt 0x0
	v_sub_f32_e32 v0, v0, v112
	s_clause 0x1
	scratch_load_b32 v112, off, off offset:92 th:TH_LOAD_LU
	scratch_load_b32 v113, off, off offset:120 th:TH_LOAD_LU
	s_wait_loadcnt 0x0
	v_sub_f32_e32 v112, v112, v113
	;; [unrolled: 5-line block ×3, first 2 shown]
	s_clause 0x1
	scratch_load_b32 v114, off, off offset:100 th:TH_LOAD_LU
	scratch_load_b32 v115, off, off offset:128 th:TH_LOAD_LU
	s_wait_kmcnt 0x0
	v_dual_mul_f32 v0, s20, v0 :: v_dual_mul_f32 v113, s20, v113
	s_delay_alu instid0(VALU_DEP_1) | instskip(SKIP_1) | instid1(VALU_DEP_3)
	v_or_b32_e32 v121, 0x400000, v0
	v_cmp_u_f32_e64 s0, v0, v0
	v_bfe_u32 v122, v113, 16, 1
	s_wait_loadcnt 0x0
	v_sub_f32_e32 v114, v114, v115
	s_clause 0x1
	scratch_load_b32 v115, off, off offset:104 th:TH_LOAD_LU
	scratch_load_b32 v116, off, off offset:132 th:TH_LOAD_LU
	s_wait_loadcnt 0x0
	v_sub_f32_e32 v115, v115, v116
	s_clause 0x1
	scratch_load_b32 v116, off, off offset:76 th:TH_LOAD_LU
	scratch_load_b32 v117, off, off offset:108 th:TH_LOAD_LU
	s_wait_loadcnt 0x0
	v_dual_mul_f32 v115, s20, v115 :: v_dual_sub_f32 v116, v116, v117
	s_clause 0x1
	scratch_load_b32 v117, off, off offset:80 th:TH_LOAD_LU
	scratch_load_b32 v118, off, off offset:112 th:TH_LOAD_LU
	s_wait_loadcnt 0x0
	v_sub_f32_e32 v117, v117, v118
	s_clause 0x1
	scratch_load_b32 v118, off, off offset:72 th:TH_LOAD_LU
	scratch_load_b32 v119, off, off offset:84 th:TH_LOAD_LU
	v_mul_f32_e32 v114, s20, v114
	s_delay_alu instid0(VALU_DEP_1) | instskip(SKIP_1) | instid1(VALU_DEP_2)
	v_bfe_u32 v123, v114, 16, 1
	v_or_b32_e32 v124, 0x400000, v114
	v_add3_u32 v123, v123, v114, 0x7fff
	s_wait_loadcnt 0x0
	v_sub_f32_e32 v118, v118, v119
	v_bfe_u32 v119, v0, 16, 1
	v_mul_f32_e32 v112, s20, v112
	s_delay_alu instid0(VALU_DEP_2) | instskip(SKIP_1) | instid1(VALU_DEP_1)
	v_add3_u32 v119, v119, v0, 0x7fff
	s_wait_alu 0xf1ff
	v_cndmask_b32_e64 v0, v119, v121, s0
	v_add3_u32 v121, v122, v113, 0x7fff
	v_or_b32_e32 v122, 0x400000, v113
	v_cmp_u_f32_e64 s0, v113, v113
	s_wait_alu 0xf1ff
	s_delay_alu instid0(VALU_DEP_1) | instskip(SKIP_4) | instid1(VALU_DEP_4)
	v_cndmask_b32_e64 v113, v121, v122, s0
	v_bfe_u32 v121, v115, 16, 1
	v_cmp_u_f32_e64 s0, v114, v114
	v_mul_f32_e32 v114, s20, v116
	v_dual_mul_f32 v116, s20, v117 :: v_dual_mul_f32 v117, s20, v118
	v_add3_u32 v118, v121, v115, 0x7fff
	s_wait_alu 0xf1ff
	v_cndmask_b32_e64 v122, v123, v124, s0
	v_or_b32_e32 v121, 0x400000, v115
	v_bfe_u32 v123, v114, 16, 1
	v_bfe_u32 v124, v116, 16, 1
	v_cmp_u_f32_e64 s0, v115, v115
	v_bfe_u32 v125, v117, 16, 1
	v_bfe_u32 v120, v112, 16, 1
	v_add3_u32 v115, v123, v114, 0x7fff
	v_or_b32_e32 v123, 0x400000, v116
	s_wait_alu 0xf1ff
	v_cndmask_b32_e64 v118, v118, v121, s0
	v_add3_u32 v121, v124, v116, 0x7fff
	v_cmp_u_f32_e64 s0, v116, v116
	v_add3_u32 v124, v125, v117, 0x7fff
	v_or_b32_e32 v125, 0x400000, v117
	v_or_b32_e32 v126, 0x400000, v114
	v_add3_u32 v120, v120, v112, 0x7fff
	s_wait_alu 0xf1ff
	v_cndmask_b32_e64 v116, v121, v123, s0
	v_cmp_u_f32_e64 s0, v117, v117
	v_or_b32_e32 v119, 0x400000, v112
	v_perm_b32 v113, v122, v113, 0x7060302
	s_wait_alu 0xf1ff
	s_delay_alu instid0(VALU_DEP_3) | instskip(SKIP_2) | instid1(VALU_DEP_1)
	v_cndmask_b32_e64 v117, v124, v125, s0
	v_cmp_u_f32_e64 s0, v114, v114
	s_wait_alu 0xf1ff
	v_cndmask_b32_e64 v114, v115, v126, s0
	v_cmp_u_f32_e64 s0, v112, v112
	v_perm_b32 v115, v117, v116, 0x7060302
	s_delay_alu instid0(VALU_DEP_3) | instskip(SKIP_1) | instid1(VALU_DEP_3)
	v_perm_b32 v114, v114, v118, 0x7060302
	s_wait_alu 0xf1ff
	v_cndmask_b32_e64 v112, v120, v119, s0
	s_delay_alu instid0(VALU_DEP_1)
	v_perm_b32 v112, v112, v0, 0x7060302
	scratch_load_b32 v0, off, off offset:40 th:TH_LOAD_LU ; 4-byte Folded Reload
	s_wait_loadcnt 0x0
	global_store_b128 v0, v[112:115], s[18:19]
	s_wait_alu 0xfffe
	s_or_b32 exec_lo, exec_lo, s1
	s_and_saveexec_b32 s1, s7
	s_cbranch_execz .LBB38_49
.LBB38_58:
	v_sub_f32_e32 v0, v4, v11
	v_dual_sub_f32 v4, v5, v12 :: v_dual_sub_f32 v5, v6, v13
	v_dual_sub_f32 v6, v7, v14 :: v_dual_sub_f32 v1, v1, v9
	v_sub_f32_e32 v7, v8, v15
	scratch_load_b32 v8, off, off offset:136 th:TH_LOAD_LU ; 4-byte Folded Reload
	s_wait_kmcnt 0x0
	v_mul_f32_e32 v0, s20, v0
	v_dual_sub_f32 v2, v2, v10 :: v_dual_mul_f32 v5, s20, v5
	v_dual_mul_f32 v6, s20, v6 :: v_dual_mul_f32 v1, s20, v1
	v_dual_mul_f32 v4, s20, v4 :: v_dual_mul_f32 v7, s20, v7
	s_delay_alu instid0(VALU_DEP_3) | instskip(NEXT) | instid1(VALU_DEP_3)
	v_bfe_u32 v11, v5, 16, 1
	v_bfe_u32 v12, v6, 16, 1
	v_or_b32_e32 v13, 0x400000, v6
	s_delay_alu instid0(VALU_DEP_4) | instskip(SKIP_1) | instid1(VALU_DEP_4)
	v_bfe_u32 v9, v4, 16, 1
	v_or_b32_e32 v15, 0x400000, v1
	v_add3_u32 v12, v12, v6, 0x7fff
	s_delay_alu instid0(VALU_DEP_3)
	v_add3_u32 v9, v9, v4, 0x7fff
	s_wait_loadcnt 0x0
	v_sub_f32_e32 v3, v8, v3
	v_bfe_u32 v8, v0, 16, 1
	v_or_b32_e32 v10, 0x400000, v0
	v_cmp_u_f32_e64 s0, v0, v0
	s_delay_alu instid0(VALU_DEP_4) | instskip(NEXT) | instid1(VALU_DEP_4)
	v_dual_mul_f32 v2, s20, v2 :: v_dual_mul_f32 v3, s20, v3
	v_add3_u32 v8, v8, v0, 0x7fff
	s_delay_alu instid0(VALU_DEP_2) | instskip(SKIP_1) | instid1(VALU_DEP_2)
	v_bfe_u32 v14, v3, 16, 1
	s_wait_alu 0xf1ff
	v_cndmask_b32_e64 v0, v8, v10, s0
	v_add3_u32 v10, v11, v5, 0x7fff
	v_or_b32_e32 v11, 0x400000, v5
	v_cmp_u_f32_e64 s0, v5, v5
	v_or_b32_e32 v8, 0x400000, v4
	s_wait_alu 0xf1ff
	s_delay_alu instid0(VALU_DEP_2) | instskip(SKIP_3) | instid1(VALU_DEP_3)
	v_cndmask_b32_e64 v5, v10, v11, s0
	v_bfe_u32 v10, v7, 16, 1
	v_cmp_u_f32_e64 s0, v6, v6
	v_or_b32_e32 v11, 0x400000, v7
	v_add3_u32 v10, v10, v7, 0x7fff
	s_wait_alu 0xf1ff
	s_delay_alu instid0(VALU_DEP_3) | instskip(SKIP_4) | instid1(VALU_DEP_1)
	v_cndmask_b32_e64 v6, v12, v13, s0
	v_bfe_u32 v12, v1, 16, 1
	v_bfe_u32 v13, v2, 16, 1
	v_cmp_u_f32_e64 s0, v7, v7
	s_wait_alu 0xf1ff
	v_cndmask_b32_e64 v7, v10, v11, s0
	v_add3_u32 v10, v12, v1, 0x7fff
	v_add3_u32 v11, v13, v2, 0x7fff
	v_or_b32_e32 v12, 0x400000, v2
	v_cmp_u_f32_e64 s0, v2, v2
	v_add3_u32 v13, v14, v3, 0x7fff
	v_or_b32_e32 v14, 0x400000, v3
	s_wait_alu 0xf1ff
	s_delay_alu instid0(VALU_DEP_3) | instskip(SKIP_2) | instid1(VALU_DEP_1)
	v_cndmask_b32_e64 v2, v11, v12, s0
	v_cmp_u_f32_e64 s0, v3, v3
	s_wait_alu 0xf1ff
	v_cndmask_b32_e64 v3, v13, v14, s0
	v_cmp_u_f32_e64 s0, v1, v1
	s_delay_alu instid0(VALU_DEP_2) | instskip(SKIP_1) | instid1(VALU_DEP_2)
	v_perm_b32 v3, v3, v2, 0x7060302
	s_wait_alu 0xf1ff
	v_cndmask_b32_e64 v1, v10, v15, s0
	v_cmp_u_f32_e64 s0, v4, v4
	s_delay_alu instid0(VALU_DEP_2) | instskip(SKIP_1) | instid1(VALU_DEP_2)
	v_perm_b32 v2, v1, v7, 0x7060302
	s_wait_alu 0xf1ff
	v_cndmask_b32_e64 v4, v9, v8, s0
	v_perm_b32 v1, v6, v5, 0x7060302
	s_delay_alu instid0(VALU_DEP_2)
	v_perm_b32 v0, v4, v0, 0x7060302
	scratch_load_b32 v4, off, off offset:36 th:TH_LOAD_LU ; 4-byte Folded Reload
	s_wait_loadcnt 0x0
	global_store_b128 v4, v[0:3], s[18:19]
	s_wait_alu 0xfffe
	s_or_b32 exec_lo, exec_lo, s1
	s_and_saveexec_b32 s1, s6
	s_cbranch_execz .LBB38_50
.LBB38_59:
	v_dual_sub_f32 v0, v20, v27 :: v_dual_sub_f32 v1, v21, v28
	v_dual_sub_f32 v2, v22, v29 :: v_dual_sub_f32 v3, v23, v30
	;; [unrolled: 1-line block ×3, first 2 shown]
	s_wait_kmcnt 0x0
	s_delay_alu instid0(VALU_DEP_3) | instskip(NEXT) | instid1(VALU_DEP_3)
	v_dual_mul_f32 v0, s20, v0 :: v_dual_mul_f32 v1, s20, v1
	v_dual_mul_f32 v2, s20, v2 :: v_dual_mul_f32 v3, s20, v3
	v_dual_sub_f32 v6, v18, v26 :: v_dual_sub_f32 v7, v16, v19
	s_delay_alu instid0(VALU_DEP_3) | instskip(SKIP_1) | instid1(VALU_DEP_4)
	v_bfe_u32 v8, v0, 16, 1
	v_or_b32_e32 v10, 0x400000, v0
	v_bfe_u32 v11, v2, 16, 1
	v_cmp_u_f32_e64 s0, v0, v0
	v_bfe_u32 v12, v3, 16, 1
	v_add3_u32 v8, v8, v0, 0x7fff
	v_mul_f32_e32 v4, s20, v4
	v_or_b32_e32 v13, 0x400000, v3
	v_bfe_u32 v9, v1, 16, 1
	v_add3_u32 v12, v12, v3, 0x7fff
	s_wait_alu 0xf1ff
	v_cndmask_b32_e64 v0, v8, v10, s0
	v_add3_u32 v10, v11, v2, 0x7fff
	v_or_b32_e32 v11, 0x400000, v2
	v_cmp_u_f32_e64 s0, v2, v2
	v_add3_u32 v9, v9, v1, 0x7fff
	v_or_b32_e32 v8, 0x400000, v1
	s_wait_alu 0xf1ff
	s_delay_alu instid0(VALU_DEP_3)
	v_cndmask_b32_e64 v10, v10, v11, s0
	v_cmp_u_f32_e64 s0, v3, v3
	v_mul_f32_e32 v3, s20, v5
	v_bfe_u32 v2, v4, 16, 1
	v_dual_mul_f32 v5, s20, v6 :: v_dual_mul_f32 v6, s20, v7
	s_wait_alu 0xf1ff
	v_cndmask_b32_e64 v11, v12, v13, s0
	v_or_b32_e32 v7, 0x400000, v4
	v_add3_u32 v2, v2, v4, 0x7fff
	v_bfe_u32 v12, v3, 16, 1
	v_bfe_u32 v13, v5, 16, 1
	v_cmp_u_f32_e64 s0, v4, v4
	v_bfe_u32 v14, v6, 16, 1
	v_or_b32_e32 v15, 0x400000, v3
	v_add3_u32 v4, v12, v3, 0x7fff
	v_or_b32_e32 v12, 0x400000, v5
	s_wait_alu 0xf1ff
	v_cndmask_b32_e64 v2, v2, v7, s0
	v_add3_u32 v7, v13, v5, 0x7fff
	v_cmp_u_f32_e64 s0, v5, v5
	v_add3_u32 v13, v14, v6, 0x7fff
	v_or_b32_e32 v14, 0x400000, v6
	s_wait_alu 0xf1ff
	s_delay_alu instid0(VALU_DEP_3) | instskip(SKIP_2) | instid1(VALU_DEP_1)
	v_cndmask_b32_e64 v5, v7, v12, s0
	v_cmp_u_f32_e64 s0, v6, v6
	s_wait_alu 0xf1ff
	v_cndmask_b32_e64 v6, v13, v14, s0
	v_cmp_u_f32_e64 s0, v3, v3
	s_delay_alu instid0(VALU_DEP_2) | instskip(SKIP_1) | instid1(VALU_DEP_2)
	v_perm_b32 v3, v6, v5, 0x7060302
	s_wait_alu 0xf1ff
	v_cndmask_b32_e64 v4, v4, v15, s0
	v_cmp_u_f32_e64 s0, v1, v1
	v_perm_b32 v1, v11, v10, 0x7060302
	s_delay_alu instid0(VALU_DEP_3) | instskip(SKIP_3) | instid1(VALU_DEP_1)
	v_perm_b32 v2, v4, v2, 0x7060302
	scratch_load_b32 v4, off, off offset:32 th:TH_LOAD_LU ; 4-byte Folded Reload
	s_wait_alu 0xf1ff
	v_cndmask_b32_e64 v7, v9, v8, s0
	v_perm_b32 v0, v7, v0, 0x7060302
	s_wait_loadcnt 0x0
	global_store_b128 v4, v[0:3], s[18:19]
	s_wait_alu 0xfffe
	s_or_b32 exec_lo, exec_lo, s1
	s_and_saveexec_b32 s1, s5
	s_cbranch_execz .LBB38_51
.LBB38_60:
	v_dual_sub_f32 v0, v36, v44 :: v_dual_sub_f32 v1, v37, v45
	v_dual_sub_f32 v2, v38, v46 :: v_dual_sub_f32 v3, v39, v47
	;; [unrolled: 1-line block ×3, first 2 shown]
	s_wait_kmcnt 0x0
	s_delay_alu instid0(VALU_DEP_3) | instskip(NEXT) | instid1(VALU_DEP_3)
	v_dual_mul_f32 v0, s20, v0 :: v_dual_mul_f32 v1, s20, v1
	v_dual_mul_f32 v2, s20, v2 :: v_dual_mul_f32 v3, s20, v3
	v_dual_sub_f32 v6, v34, v42 :: v_dual_sub_f32 v7, v32, v35
	s_delay_alu instid0(VALU_DEP_3) | instskip(SKIP_1) | instid1(VALU_DEP_4)
	v_bfe_u32 v8, v0, 16, 1
	v_or_b32_e32 v10, 0x400000, v0
	v_bfe_u32 v11, v2, 16, 1
	v_cmp_u_f32_e64 s0, v0, v0
	v_bfe_u32 v12, v3, 16, 1
	v_add3_u32 v8, v8, v0, 0x7fff
	v_mul_f32_e32 v4, s20, v4
	v_or_b32_e32 v13, 0x400000, v3
	v_bfe_u32 v9, v1, 16, 1
	v_add3_u32 v12, v12, v3, 0x7fff
	s_wait_alu 0xf1ff
	v_cndmask_b32_e64 v0, v8, v10, s0
	v_add3_u32 v10, v11, v2, 0x7fff
	v_or_b32_e32 v11, 0x400000, v2
	v_cmp_u_f32_e64 s0, v2, v2
	v_add3_u32 v9, v9, v1, 0x7fff
	v_or_b32_e32 v8, 0x400000, v1
	s_wait_alu 0xf1ff
	s_delay_alu instid0(VALU_DEP_3)
	v_cndmask_b32_e64 v10, v10, v11, s0
	v_cmp_u_f32_e64 s0, v3, v3
	v_mul_f32_e32 v3, s20, v5
	v_bfe_u32 v2, v4, 16, 1
	v_dual_mul_f32 v5, s20, v6 :: v_dual_mul_f32 v6, s20, v7
	s_wait_alu 0xf1ff
	v_cndmask_b32_e64 v11, v12, v13, s0
	v_or_b32_e32 v7, 0x400000, v4
	v_add3_u32 v2, v2, v4, 0x7fff
	v_bfe_u32 v12, v3, 16, 1
	v_bfe_u32 v13, v5, 16, 1
	v_cmp_u_f32_e64 s0, v4, v4
	v_bfe_u32 v14, v6, 16, 1
	v_or_b32_e32 v15, 0x400000, v3
	v_add3_u32 v4, v12, v3, 0x7fff
	v_or_b32_e32 v12, 0x400000, v5
	s_wait_alu 0xf1ff
	v_cndmask_b32_e64 v2, v2, v7, s0
	v_add3_u32 v7, v13, v5, 0x7fff
	v_cmp_u_f32_e64 s0, v5, v5
	v_add3_u32 v13, v14, v6, 0x7fff
	v_or_b32_e32 v14, 0x400000, v6
	s_wait_alu 0xf1ff
	s_delay_alu instid0(VALU_DEP_3) | instskip(SKIP_2) | instid1(VALU_DEP_1)
	v_cndmask_b32_e64 v5, v7, v12, s0
	v_cmp_u_f32_e64 s0, v6, v6
	s_wait_alu 0xf1ff
	v_cndmask_b32_e64 v6, v13, v14, s0
	v_cmp_u_f32_e64 s0, v3, v3
	s_delay_alu instid0(VALU_DEP_2) | instskip(SKIP_1) | instid1(VALU_DEP_2)
	v_perm_b32 v3, v6, v5, 0x7060302
	s_wait_alu 0xf1ff
	v_cndmask_b32_e64 v4, v4, v15, s0
	v_cmp_u_f32_e64 s0, v1, v1
	v_perm_b32 v1, v11, v10, 0x7060302
	s_delay_alu instid0(VALU_DEP_3) | instskip(SKIP_3) | instid1(VALU_DEP_1)
	v_perm_b32 v2, v4, v2, 0x7060302
	scratch_load_b32 v4, off, off offset:28 th:TH_LOAD_LU ; 4-byte Folded Reload
	s_wait_alu 0xf1ff
	v_cndmask_b32_e64 v7, v9, v8, s0
	v_perm_b32 v0, v7, v0, 0x7060302
	s_wait_loadcnt 0x0
	global_store_b128 v4, v[0:3], s[18:19]
	s_wait_alu 0xfffe
	s_or_b32 exec_lo, exec_lo, s1
	s_and_saveexec_b32 s1, s4
	s_cbranch_execz .LBB38_52
.LBB38_61:
	v_dual_sub_f32 v0, v52, v60 :: v_dual_sub_f32 v1, v53, v61
	v_dual_sub_f32 v2, v54, v62 :: v_dual_sub_f32 v3, v55, v63
	;; [unrolled: 1-line block ×3, first 2 shown]
	s_wait_kmcnt 0x0
	s_delay_alu instid0(VALU_DEP_3) | instskip(NEXT) | instid1(VALU_DEP_3)
	v_dual_mul_f32 v0, s20, v0 :: v_dual_mul_f32 v1, s20, v1
	v_dual_mul_f32 v2, s20, v2 :: v_dual_mul_f32 v3, s20, v3
	v_dual_sub_f32 v6, v50, v58 :: v_dual_sub_f32 v7, v43, v51
	s_delay_alu instid0(VALU_DEP_3) | instskip(SKIP_1) | instid1(VALU_DEP_4)
	v_bfe_u32 v8, v0, 16, 1
	v_or_b32_e32 v10, 0x400000, v0
	v_bfe_u32 v11, v2, 16, 1
	v_cmp_u_f32_e64 s0, v0, v0
	v_bfe_u32 v12, v3, 16, 1
	v_add3_u32 v8, v8, v0, 0x7fff
	v_mul_f32_e32 v4, s20, v4
	v_or_b32_e32 v13, 0x400000, v3
	v_bfe_u32 v9, v1, 16, 1
	v_add3_u32 v12, v12, v3, 0x7fff
	s_wait_alu 0xf1ff
	v_cndmask_b32_e64 v0, v8, v10, s0
	v_add3_u32 v10, v11, v2, 0x7fff
	v_or_b32_e32 v11, 0x400000, v2
	v_cmp_u_f32_e64 s0, v2, v2
	v_add3_u32 v9, v9, v1, 0x7fff
	v_or_b32_e32 v8, 0x400000, v1
	s_wait_alu 0xf1ff
	s_delay_alu instid0(VALU_DEP_3)
	v_cndmask_b32_e64 v10, v10, v11, s0
	v_cmp_u_f32_e64 s0, v3, v3
	v_mul_f32_e32 v3, s20, v5
	v_bfe_u32 v2, v4, 16, 1
	v_dual_mul_f32 v5, s20, v6 :: v_dual_mul_f32 v6, s20, v7
	s_wait_alu 0xf1ff
	v_cndmask_b32_e64 v11, v12, v13, s0
	v_or_b32_e32 v7, 0x400000, v4
	v_add3_u32 v2, v2, v4, 0x7fff
	v_bfe_u32 v12, v3, 16, 1
	v_bfe_u32 v13, v5, 16, 1
	v_cmp_u_f32_e64 s0, v4, v4
	v_bfe_u32 v14, v6, 16, 1
	v_or_b32_e32 v15, 0x400000, v3
	v_add3_u32 v4, v12, v3, 0x7fff
	v_or_b32_e32 v12, 0x400000, v5
	s_wait_alu 0xf1ff
	v_cndmask_b32_e64 v2, v2, v7, s0
	v_add3_u32 v7, v13, v5, 0x7fff
	v_cmp_u_f32_e64 s0, v5, v5
	v_add3_u32 v13, v14, v6, 0x7fff
	v_or_b32_e32 v14, 0x400000, v6
	s_wait_alu 0xf1ff
	s_delay_alu instid0(VALU_DEP_3) | instskip(SKIP_2) | instid1(VALU_DEP_1)
	v_cndmask_b32_e64 v5, v7, v12, s0
	v_cmp_u_f32_e64 s0, v6, v6
	s_wait_alu 0xf1ff
	v_cndmask_b32_e64 v6, v13, v14, s0
	v_cmp_u_f32_e64 s0, v3, v3
	s_delay_alu instid0(VALU_DEP_2) | instskip(SKIP_1) | instid1(VALU_DEP_2)
	v_perm_b32 v3, v6, v5, 0x7060302
	s_wait_alu 0xf1ff
	v_cndmask_b32_e64 v4, v4, v15, s0
	v_cmp_u_f32_e64 s0, v1, v1
	v_perm_b32 v1, v11, v10, 0x7060302
	s_delay_alu instid0(VALU_DEP_3) | instskip(SKIP_3) | instid1(VALU_DEP_1)
	v_perm_b32 v2, v4, v2, 0x7060302
	scratch_load_b32 v4, off, off offset:24 th:TH_LOAD_LU ; 4-byte Folded Reload
	s_wait_alu 0xf1ff
	v_cndmask_b32_e64 v7, v9, v8, s0
	v_perm_b32 v0, v7, v0, 0x7060302
	s_wait_loadcnt 0x0
	global_store_b128 v4, v[0:3], s[18:19]
	s_wait_alu 0xfffe
	s_or_b32 exec_lo, exec_lo, s1
	s_and_saveexec_b32 s1, s3
	s_cbranch_execz .LBB38_53
.LBB38_62:
	v_dual_sub_f32 v0, v69, v87 :: v_dual_sub_f32 v1, v70, v88
	v_dual_sub_f32 v2, v71, v89 :: v_dual_sub_f32 v3, v72, v90
	v_sub_f32_e32 v7, v59, v68
	s_wait_kmcnt 0x0
	s_delay_alu instid0(VALU_DEP_3) | instskip(NEXT) | instid1(VALU_DEP_3)
	v_dual_mul_f32 v0, s20, v0 :: v_dual_mul_f32 v1, s20, v1
	v_mul_f32_e32 v2, s20, v2
	v_dual_sub_f32 v4, v73, v91 :: v_dual_sub_f32 v5, v66, v78
	s_delay_alu instid0(VALU_DEP_3) | instskip(NEXT) | instid1(VALU_DEP_4)
	v_bfe_u32 v8, v0, 16, 1
	v_bfe_u32 v9, v1, 16, 1
	v_or_b32_e32 v10, 0x400000, v0
	v_cmp_u_f32_e64 s0, v0, v0
	v_dual_mul_f32 v3, s20, v3 :: v_dual_mul_f32 v4, s20, v4
	v_add3_u32 v8, v8, v0, 0x7fff
	v_or_b32_e32 v11, 0x400000, v1
	v_bfe_u32 v12, v2, 16, 1
	v_add3_u32 v9, v9, v1, 0x7fff
	v_bfe_u32 v0, v3, 16, 1
	s_wait_alu 0xf1ff
	v_cndmask_b32_e64 v8, v8, v10, s0
	v_cmp_u_f32_e64 s0, v1, v1
	v_add3_u32 v1, v12, v2, 0x7fff
	v_or_b32_e32 v10, 0x400000, v2
	v_add3_u32 v0, v0, v3, 0x7fff
	v_bfe_u32 v12, v4, 16, 1
	s_wait_alu 0xf1ff
	v_cndmask_b32_e64 v9, v9, v11, s0
	v_cmp_u_f32_e64 s0, v2, v2
	v_or_b32_e32 v11, 0x400000, v3
	v_dual_sub_f32 v6, v67, v79 :: v_dual_mul_f32 v5, s20, v5
	v_or_b32_e32 v2, 0x400000, v4
	s_wait_alu 0xf1ff
	v_cndmask_b32_e64 v10, v1, v10, s0
	v_cmp_u_f32_e64 s0, v3, v3
	v_dual_mul_f32 v3, s20, v6 :: v_dual_mul_f32 v6, s20, v7
	v_bfe_u32 v1, v5, 16, 1
	v_or_b32_e32 v7, 0x400000, v5
	s_wait_alu 0xf1ff
	v_cndmask_b32_e64 v11, v0, v11, s0
	v_add3_u32 v0, v12, v4, 0x7fff
	scratch_load_b64 v[12:13], off, off offset:16 th:TH_LOAD_LU ; 8-byte Folded Reload
	v_cmp_u_f32_e64 s0, v4, v4
	v_add3_u32 v1, v1, v5, 0x7fff
	v_bfe_u32 v4, v6, 16, 1
	s_wait_loadcnt 0x0
	v_or_b32_e32 v13, 0x400000, v6
	v_mov_b32_e32 v15, 0
	s_wait_alu 0xf1ff
	v_cndmask_b32_e64 v2, v0, v2, s0
	v_bfe_u32 v0, v3, 16, 1
	v_cmp_u_f32_e64 s0, v5, v5
	v_add3_u32 v4, v4, v6, 0x7fff
	s_delay_alu instid0(VALU_DEP_3) | instskip(SKIP_1) | instid1(VALU_DEP_3)
	v_add3_u32 v5, v0, v3, 0x7fff
	s_wait_alu 0xf1ff
	v_cndmask_b32_e64 v7, v1, v7, s0
	v_cmp_u_f32_e64 s0, v3, v3
	s_delay_alu instid0(VALU_DEP_2) | instskip(SKIP_2) | instid1(VALU_DEP_2)
	v_perm_b32 v2, v7, v2, 0x7060302
	v_mov_b32_e32 v14, v12
	v_or_b32_e32 v12, 0x400000, v3
	v_lshlrev_b64_e32 v[0:1], 4, v[14:15]
	s_wait_alu 0xf1ff
	s_delay_alu instid0(VALU_DEP_2) | instskip(SKIP_2) | instid1(VALU_DEP_1)
	v_cndmask_b32_e64 v3, v5, v12, s0
	v_cmp_u_f32_e64 s0, v6, v6
	s_wait_alu 0xf1ff
	v_cndmask_b32_e64 v6, v4, v13, s0
	v_add_co_u32 v4, s0, s18, v0
	s_wait_alu 0xf1ff
	v_add_co_ci_u32_e64 v5, null, s19, v1, s0
	s_delay_alu instid0(VALU_DEP_3)
	v_perm_b32 v3, v6, v3, 0x7060302
	v_perm_b32 v1, v11, v10, 0x7060302
	;; [unrolled: 1-line block ×3, first 2 shown]
	global_store_b128 v[4:5], v[0:3], off
	s_wait_alu 0xfffe
	s_or_b32 exec_lo, exec_lo, s1
	s_and_saveexec_b32 s1, s2
	s_cbranch_execz .LBB38_54
.LBB38_63:
	v_dual_sub_f32 v0, v81, v101 :: v_dual_sub_f32 v1, v82, v102
	v_dual_sub_f32 v2, v83, v103 :: v_dual_sub_f32 v3, v84, v104
	;; [unrolled: 1-line block ×3, first 2 shown]
	s_wait_kmcnt 0x0
	s_delay_alu instid0(VALU_DEP_3) | instskip(NEXT) | instid1(VALU_DEP_3)
	v_dual_mul_f32 v0, s20, v0 :: v_dual_mul_f32 v1, s20, v1
	v_dual_mul_f32 v2, s20, v2 :: v_dual_mul_f32 v3, s20, v3
	s_delay_alu instid0(VALU_DEP_3) | instskip(NEXT) | instid1(VALU_DEP_3)
	v_dual_mul_f32 v4, s20, v4 :: v_dual_mul_f32 v5, s20, v5
	v_bfe_u32 v8, v0, 16, 1
	s_delay_alu instid0(VALU_DEP_4)
	v_bfe_u32 v9, v1, 16, 1
	v_or_b32_e32 v10, 0x400000, v0
	v_cmp_u_f32_e64 s0, v0, v0
	v_or_b32_e32 v11, 0x400000, v1
	v_add3_u32 v8, v8, v0, 0x7fff
	v_bfe_u32 v12, v2, 16, 1
	v_add3_u32 v9, v9, v1, 0x7fff
	v_bfe_u32 v0, v3, 16, 1
	v_dual_sub_f32 v6, v75, v93 :: v_dual_sub_f32 v7, v65, v76
	s_wait_alu 0xf1ff
	v_cndmask_b32_e64 v8, v8, v10, s0
	v_cmp_u_f32_e64 s0, v1, v1
	v_add3_u32 v1, v12, v2, 0x7fff
	v_or_b32_e32 v10, 0x400000, v2
	v_add3_u32 v0, v0, v3, 0x7fff
	v_bfe_u32 v12, v4, 16, 1
	s_wait_alu 0xf1ff
	v_cndmask_b32_e64 v9, v9, v11, s0
	v_cmp_u_f32_e64 s0, v2, v2
	v_or_b32_e32 v11, 0x400000, v3
	v_or_b32_e32 v2, 0x400000, v4
	v_mov_b32_e32 v15, 0
	s_wait_alu 0xf1ff
	v_cndmask_b32_e64 v10, v1, v10, s0
	v_cmp_u_f32_e64 s0, v3, v3
	v_bfe_u32 v1, v5, 16, 1
	v_dual_mul_f32 v3, s20, v6 :: v_dual_mul_f32 v6, s20, v7
	v_or_b32_e32 v7, 0x400000, v5
	s_wait_alu 0xf1ff
	v_cndmask_b32_e64 v11, v0, v11, s0
	v_add3_u32 v0, v12, v4, 0x7fff
	scratch_load_b64 v[12:13], off, off offset:8 th:TH_LOAD_LU ; 8-byte Folded Reload
	v_cmp_u_f32_e64 s0, v4, v4
	v_add3_u32 v1, v1, v5, 0x7fff
	v_bfe_u32 v4, v6, 16, 1
	s_wait_loadcnt 0x0
	v_or_b32_e32 v13, 0x400000, v6
	s_wait_alu 0xf1ff
	v_cndmask_b32_e64 v2, v0, v2, s0
	v_bfe_u32 v0, v3, 16, 1
	v_cmp_u_f32_e64 s0, v5, v5
	v_add3_u32 v4, v4, v6, 0x7fff
	s_delay_alu instid0(VALU_DEP_3) | instskip(SKIP_1) | instid1(VALU_DEP_3)
	v_add3_u32 v5, v0, v3, 0x7fff
	s_wait_alu 0xf1ff
	v_cndmask_b32_e64 v7, v1, v7, s0
	v_cmp_u_f32_e64 s0, v3, v3
	s_delay_alu instid0(VALU_DEP_2) | instskip(SKIP_2) | instid1(VALU_DEP_2)
	v_perm_b32 v2, v7, v2, 0x7060302
	v_mov_b32_e32 v14, v12
	v_or_b32_e32 v12, 0x400000, v3
	v_lshlrev_b64_e32 v[0:1], 4, v[14:15]
	s_wait_alu 0xf1ff
	s_delay_alu instid0(VALU_DEP_2) | instskip(SKIP_2) | instid1(VALU_DEP_1)
	v_cndmask_b32_e64 v3, v5, v12, s0
	v_cmp_u_f32_e64 s0, v6, v6
	s_wait_alu 0xf1ff
	v_cndmask_b32_e64 v6, v4, v13, s0
	v_add_co_u32 v4, s0, s18, v0
	s_wait_alu 0xf1ff
	v_add_co_ci_u32_e64 v5, null, s19, v1, s0
	s_delay_alu instid0(VALU_DEP_3)
	v_perm_b32 v3, v6, v3, 0x7060302
	v_perm_b32 v1, v11, v10, 0x7060302
	;; [unrolled: 1-line block ×3, first 2 shown]
	global_store_b128 v[4:5], v[0:3], off
	s_wait_alu 0xfffe
	s_or_b32 exec_lo, exec_lo, s1
	s_and_saveexec_b32 s0, vcc_lo
	s_cbranch_execz .LBB38_55
.LBB38_64:
	v_dual_sub_f32 v0, v96, v109 :: v_dual_sub_f32 v1, v94, v107
	v_dual_sub_f32 v2, v97, v110 :: v_dual_sub_f32 v3, v95, v108
	;; [unrolled: 1-line block ×3, first 2 shown]
	s_wait_kmcnt 0x0
	s_delay_alu instid0(VALU_DEP_3) | instskip(NEXT) | instid1(VALU_DEP_3)
	v_dual_mul_f32 v0, s20, v0 :: v_dual_mul_f32 v1, s20, v1
	v_dual_mul_f32 v3, s20, v3 :: v_dual_mul_f32 v2, s20, v2
	s_delay_alu instid0(VALU_DEP_3) | instskip(NEXT) | instid1(VALU_DEP_3)
	v_dual_mul_f32 v4, s20, v4 :: v_dual_mul_f32 v5, s20, v5
	v_bfe_u32 v8, v0, 16, 1
	s_delay_alu instid0(VALU_DEP_4)
	v_bfe_u32 v9, v1, 16, 1
	v_or_b32_e32 v10, 0x400000, v0
	v_cmp_u_f32_e32 vcc_lo, v0, v0
	v_or_b32_e32 v11, 0x400000, v1
	v_add3_u32 v8, v8, v0, 0x7fff
	v_bfe_u32 v12, v2, 16, 1
	v_add3_u32 v9, v9, v1, 0x7fff
	v_bfe_u32 v0, v3, 16, 1
	v_dual_sub_f32 v6, v86, v106 :: v_dual_sub_f32 v7, v77, v99
	s_wait_alu 0xfffd
	v_cndmask_b32_e32 v8, v8, v10, vcc_lo
	v_cmp_u_f32_e32 vcc_lo, v1, v1
	v_add3_u32 v1, v12, v2, 0x7fff
	v_or_b32_e32 v10, 0x400000, v2
	v_add3_u32 v0, v0, v3, 0x7fff
	v_bfe_u32 v12, v4, 16, 1
	s_wait_alu 0xfffd
	v_cndmask_b32_e32 v9, v9, v11, vcc_lo
	v_cmp_u_f32_e32 vcc_lo, v2, v2
	v_or_b32_e32 v11, 0x400000, v3
	v_or_b32_e32 v2, 0x400000, v4
	s_wait_alu 0xfffd
	v_dual_mov_b32 v15, 0 :: v_dual_cndmask_b32 v10, v1, v10
	v_cmp_u_f32_e32 vcc_lo, v3, v3
	v_bfe_u32 v1, v5, 16, 1
	v_dual_mul_f32 v3, s20, v6 :: v_dual_mul_f32 v6, s20, v7
	v_or_b32_e32 v7, 0x400000, v5
	s_wait_alu 0xfffd
	v_cndmask_b32_e32 v11, v0, v11, vcc_lo
	v_add3_u32 v0, v12, v4, 0x7fff
	scratch_load_b64 v[12:13], off, off th:TH_LOAD_LU ; 8-byte Folded Reload
	v_cmp_u_f32_e32 vcc_lo, v4, v4
	v_add3_u32 v1, v1, v5, 0x7fff
	v_bfe_u32 v4, v6, 16, 1
	s_wait_loadcnt 0x0
	v_or_b32_e32 v13, 0x400000, v6
	s_wait_alu 0xfffd
	v_cndmask_b32_e32 v2, v0, v2, vcc_lo
	v_bfe_u32 v0, v3, 16, 1
	v_cmp_u_f32_e32 vcc_lo, v5, v5
	v_add3_u32 v4, v4, v6, 0x7fff
	s_delay_alu instid0(VALU_DEP_3) | instskip(SKIP_3) | instid1(VALU_DEP_2)
	v_add3_u32 v5, v0, v3, 0x7fff
	s_wait_alu 0xfffd
	v_cndmask_b32_e32 v7, v1, v7, vcc_lo
	v_cmp_u_f32_e32 vcc_lo, v3, v3
	v_perm_b32 v2, v7, v2, 0x7060302
	v_mov_b32_e32 v14, v12
	v_or_b32_e32 v12, 0x400000, v3
	s_delay_alu instid0(VALU_DEP_2) | instskip(SKIP_1) | instid1(VALU_DEP_2)
	v_lshlrev_b64_e32 v[0:1], 4, v[14:15]
	s_wait_alu 0xfffd
	v_cndmask_b32_e32 v3, v5, v12, vcc_lo
	v_cmp_u_f32_e32 vcc_lo, v6, v6
	s_wait_alu 0xfffd
	v_cndmask_b32_e32 v6, v4, v13, vcc_lo
	v_add_co_u32 v4, vcc_lo, s18, v0
	s_wait_alu 0xfffd
	v_add_co_ci_u32_e64 v5, null, s19, v1, vcc_lo
	s_delay_alu instid0(VALU_DEP_3)
	v_perm_b32 v3, v6, v3, 0x7060302
	v_perm_b32 v1, v11, v10, 0x7060302
	v_perm_b32 v0, v9, v8, 0x7060302
	global_store_b128 v[4:5], v[0:3], off
	s_nop 0
	s_sendmsg sendmsg(MSG_DEALLOC_VGPRS)
	s_endpgm
	.section	.rodata,"a",@progbits
	.p2align	6, 0x0
	.amdhsa_kernel _Z30fast_hadamard_transform_kernelI37fast_hadamard_transform_kernel_traitsILi256ELi15E14__hip_bfloat16EEv18HadamardParamsBase
		.amdhsa_group_segment_fixed_size 0
		.amdhsa_private_segment_fixed_size 144
		.amdhsa_kernarg_size 312
		.amdhsa_user_sgpr_count 2
		.amdhsa_user_sgpr_dispatch_ptr 0
		.amdhsa_user_sgpr_queue_ptr 0
		.amdhsa_user_sgpr_kernarg_segment_ptr 1
		.amdhsa_user_sgpr_dispatch_id 0
		.amdhsa_user_sgpr_private_segment_size 0
		.amdhsa_wavefront_size32 1
		.amdhsa_uses_dynamic_stack 0
		.amdhsa_enable_private_segment 1
		.amdhsa_system_sgpr_workgroup_id_x 1
		.amdhsa_system_sgpr_workgroup_id_y 0
		.amdhsa_system_sgpr_workgroup_id_z 0
		.amdhsa_system_sgpr_workgroup_info 0
		.amdhsa_system_vgpr_workitem_id 0
		.amdhsa_next_free_vgpr 256
		.amdhsa_next_free_sgpr 30
		.amdhsa_reserve_vcc 1
		.amdhsa_float_round_mode_32 0
		.amdhsa_float_round_mode_16_64 0
		.amdhsa_float_denorm_mode_32 3
		.amdhsa_float_denorm_mode_16_64 3
		.amdhsa_fp16_overflow 0
		.amdhsa_workgroup_processor_mode 1
		.amdhsa_memory_ordered 1
		.amdhsa_forward_progress 1
		.amdhsa_inst_pref_size 255
		.amdhsa_round_robin_scheduling 0
		.amdhsa_exception_fp_ieee_invalid_op 0
		.amdhsa_exception_fp_denorm_src 0
		.amdhsa_exception_fp_ieee_div_zero 0
		.amdhsa_exception_fp_ieee_overflow 0
		.amdhsa_exception_fp_ieee_underflow 0
		.amdhsa_exception_fp_ieee_inexact 0
		.amdhsa_exception_int_div_zero 0
	.end_amdhsa_kernel
	.section	.text._Z30fast_hadamard_transform_kernelI37fast_hadamard_transform_kernel_traitsILi256ELi15E14__hip_bfloat16EEv18HadamardParamsBase,"axG",@progbits,_Z30fast_hadamard_transform_kernelI37fast_hadamard_transform_kernel_traitsILi256ELi15E14__hip_bfloat16EEv18HadamardParamsBase,comdat
.Lfunc_end38:
	.size	_Z30fast_hadamard_transform_kernelI37fast_hadamard_transform_kernel_traitsILi256ELi15E14__hip_bfloat16EEv18HadamardParamsBase, .Lfunc_end38-_Z30fast_hadamard_transform_kernelI37fast_hadamard_transform_kernel_traitsILi256ELi15E14__hip_bfloat16EEv18HadamardParamsBase
                                        ; -- End function
	.set _Z30fast_hadamard_transform_kernelI37fast_hadamard_transform_kernel_traitsILi256ELi15E14__hip_bfloat16EEv18HadamardParamsBase.num_vgpr, 256
	.set _Z30fast_hadamard_transform_kernelI37fast_hadamard_transform_kernel_traitsILi256ELi15E14__hip_bfloat16EEv18HadamardParamsBase.num_agpr, 0
	.set _Z30fast_hadamard_transform_kernelI37fast_hadamard_transform_kernel_traitsILi256ELi15E14__hip_bfloat16EEv18HadamardParamsBase.numbered_sgpr, 30
	.set _Z30fast_hadamard_transform_kernelI37fast_hadamard_transform_kernel_traitsILi256ELi15E14__hip_bfloat16EEv18HadamardParamsBase.num_named_barrier, 0
	.set _Z30fast_hadamard_transform_kernelI37fast_hadamard_transform_kernel_traitsILi256ELi15E14__hip_bfloat16EEv18HadamardParamsBase.private_seg_size, 144
	.set _Z30fast_hadamard_transform_kernelI37fast_hadamard_transform_kernel_traitsILi256ELi15E14__hip_bfloat16EEv18HadamardParamsBase.uses_vcc, 1
	.set _Z30fast_hadamard_transform_kernelI37fast_hadamard_transform_kernel_traitsILi256ELi15E14__hip_bfloat16EEv18HadamardParamsBase.uses_flat_scratch, 1
	.set _Z30fast_hadamard_transform_kernelI37fast_hadamard_transform_kernel_traitsILi256ELi15E14__hip_bfloat16EEv18HadamardParamsBase.has_dyn_sized_stack, 0
	.set _Z30fast_hadamard_transform_kernelI37fast_hadamard_transform_kernel_traitsILi256ELi15E14__hip_bfloat16EEv18HadamardParamsBase.has_recursion, 0
	.set _Z30fast_hadamard_transform_kernelI37fast_hadamard_transform_kernel_traitsILi256ELi15E14__hip_bfloat16EEv18HadamardParamsBase.has_indirect_call, 0
	.section	.AMDGPU.csdata,"",@progbits
; Kernel info:
; codeLenInByte = 39900
; TotalNumSgprs: 32
; NumVgprs: 256
; ScratchSize: 144
; MemoryBound: 0
; FloatMode: 240
; IeeeMode: 1
; LDSByteSize: 0 bytes/workgroup (compile time only)
; SGPRBlocks: 0
; VGPRBlocks: 31
; NumSGPRsForWavesPerEU: 32
; NumVGPRsForWavesPerEU: 256
; Occupancy: 5
; WaveLimiterHint : 0
; COMPUTE_PGM_RSRC2:SCRATCH_EN: 1
; COMPUTE_PGM_RSRC2:USER_SGPR: 2
; COMPUTE_PGM_RSRC2:TRAP_HANDLER: 0
; COMPUTE_PGM_RSRC2:TGID_X_EN: 1
; COMPUTE_PGM_RSRC2:TGID_Y_EN: 0
; COMPUTE_PGM_RSRC2:TGID_Z_EN: 0
; COMPUTE_PGM_RSRC2:TIDIG_COMP_CNT: 0
	.section	.AMDGPU.gpr_maximums,"",@progbits
	.set amdgpu.max_num_vgpr, 0
	.set amdgpu.max_num_agpr, 0
	.set amdgpu.max_num_sgpr, 0
	.section	.AMDGPU.csdata,"",@progbits
	.type	__hip_cuid_ea1b5d8dfdcbe4ca,@object ; @__hip_cuid_ea1b5d8dfdcbe4ca
	.section	.bss,"aw",@nobits
	.globl	__hip_cuid_ea1b5d8dfdcbe4ca
__hip_cuid_ea1b5d8dfdcbe4ca:
	.byte	0                               ; 0x0
	.size	__hip_cuid_ea1b5d8dfdcbe4ca, 1

	.ident	"AMD clang version 22.0.0git (https://github.com/RadeonOpenCompute/llvm-project roc-7.2.4 26084 f58b06dce1f9c15707c5f808fd002e18c2accf7e)"
	.section	".note.GNU-stack","",@progbits
	.addrsig
	.addrsig_sym __hip_cuid_ea1b5d8dfdcbe4ca
	.amdgpu_metadata
---
amdhsa.kernels:
  - .args:
      - .offset:         0
        .size:           56
        .value_kind:     by_value
      - .offset:         56
        .size:           4
        .value_kind:     hidden_block_count_x
      - .offset:         60
        .size:           4
        .value_kind:     hidden_block_count_y
      - .offset:         64
        .size:           4
        .value_kind:     hidden_block_count_z
      - .offset:         68
        .size:           2
        .value_kind:     hidden_group_size_x
      - .offset:         70
        .size:           2
        .value_kind:     hidden_group_size_y
      - .offset:         72
        .size:           2
        .value_kind:     hidden_group_size_z
      - .offset:         74
        .size:           2
        .value_kind:     hidden_remainder_x
      - .offset:         76
        .size:           2
        .value_kind:     hidden_remainder_y
      - .offset:         78
        .size:           2
        .value_kind:     hidden_remainder_z
      - .offset:         96
        .size:           8
        .value_kind:     hidden_global_offset_x
      - .offset:         104
        .size:           8
        .value_kind:     hidden_global_offset_y
      - .offset:         112
        .size:           8
        .value_kind:     hidden_global_offset_z
      - .offset:         120
        .size:           2
        .value_kind:     hidden_grid_dims
    .group_segment_fixed_size: 0
    .kernarg_segment_align: 8
    .kernarg_segment_size: 312
    .language:       OpenCL C
    .language_version:
      - 2
      - 0
    .max_flat_workgroup_size: 1
    .name:           _Z30fast_hadamard_transform_kernelI37fast_hadamard_transform_kernel_traitsILi1ELi3EfEEv18HadamardParamsBase
    .private_segment_fixed_size: 0
    .sgpr_count:     24
    .sgpr_spill_count: 0
    .symbol:         _Z30fast_hadamard_transform_kernelI37fast_hadamard_transform_kernel_traitsILi1ELi3EfEEv18HadamardParamsBase.kd
    .uniform_work_group_size: 1
    .uses_dynamic_stack: false
    .vgpr_count:     5
    .vgpr_spill_count: 0
    .wavefront_size: 32
    .workgroup_processor_mode: 1
  - .args:
      - .offset:         0
        .size:           56
        .value_kind:     by_value
      - .offset:         56
        .size:           4
        .value_kind:     hidden_block_count_x
      - .offset:         60
        .size:           4
        .value_kind:     hidden_block_count_y
      - .offset:         64
        .size:           4
        .value_kind:     hidden_block_count_z
      - .offset:         68
        .size:           2
        .value_kind:     hidden_group_size_x
      - .offset:         70
        .size:           2
        .value_kind:     hidden_group_size_y
      - .offset:         72
        .size:           2
        .value_kind:     hidden_group_size_z
      - .offset:         74
        .size:           2
        .value_kind:     hidden_remainder_x
      - .offset:         76
        .size:           2
        .value_kind:     hidden_remainder_y
      - .offset:         78
        .size:           2
        .value_kind:     hidden_remainder_z
      - .offset:         96
        .size:           8
        .value_kind:     hidden_global_offset_x
      - .offset:         104
        .size:           8
        .value_kind:     hidden_global_offset_y
      - .offset:         112
        .size:           8
        .value_kind:     hidden_global_offset_z
      - .offset:         120
        .size:           2
        .value_kind:     hidden_grid_dims
    .group_segment_fixed_size: 0
    .kernarg_segment_align: 8
    .kernarg_segment_size: 312
    .language:       OpenCL C
    .language_version:
      - 2
      - 0
    .max_flat_workgroup_size: 2
    .name:           _Z30fast_hadamard_transform_kernelI37fast_hadamard_transform_kernel_traitsILi2ELi4EfEEv18HadamardParamsBase
    .private_segment_fixed_size: 0
    .sgpr_count:     16
    .sgpr_spill_count: 0
    .symbol:         _Z30fast_hadamard_transform_kernelI37fast_hadamard_transform_kernel_traitsILi2ELi4EfEEv18HadamardParamsBase.kd
    .uniform_work_group_size: 1
    .uses_dynamic_stack: false
    .vgpr_count:     20
    .vgpr_spill_count: 0
    .wavefront_size: 32
    .workgroup_processor_mode: 1
  - .args:
      - .offset:         0
        .size:           56
        .value_kind:     by_value
      - .offset:         56
        .size:           4
        .value_kind:     hidden_block_count_x
      - .offset:         60
        .size:           4
        .value_kind:     hidden_block_count_y
      - .offset:         64
        .size:           4
        .value_kind:     hidden_block_count_z
      - .offset:         68
        .size:           2
        .value_kind:     hidden_group_size_x
      - .offset:         70
        .size:           2
        .value_kind:     hidden_group_size_y
      - .offset:         72
        .size:           2
        .value_kind:     hidden_group_size_z
      - .offset:         74
        .size:           2
        .value_kind:     hidden_remainder_x
      - .offset:         76
        .size:           2
        .value_kind:     hidden_remainder_y
      - .offset:         78
        .size:           2
        .value_kind:     hidden_remainder_z
      - .offset:         96
        .size:           8
        .value_kind:     hidden_global_offset_x
      - .offset:         104
        .size:           8
        .value_kind:     hidden_global_offset_y
      - .offset:         112
        .size:           8
        .value_kind:     hidden_global_offset_z
      - .offset:         120
        .size:           2
        .value_kind:     hidden_grid_dims
    .group_segment_fixed_size: 0
    .kernarg_segment_align: 8
    .kernarg_segment_size: 312
    .language:       OpenCL C
    .language_version:
      - 2
      - 0
    .max_flat_workgroup_size: 4
    .name:           _Z30fast_hadamard_transform_kernelI37fast_hadamard_transform_kernel_traitsILi4ELi5EfEEv18HadamardParamsBase
    .private_segment_fixed_size: 0
    .sgpr_count:     16
    .sgpr_spill_count: 0
    .symbol:         _Z30fast_hadamard_transform_kernelI37fast_hadamard_transform_kernel_traitsILi4ELi5EfEEv18HadamardParamsBase.kd
    .uniform_work_group_size: 1
    .uses_dynamic_stack: false
    .vgpr_count:     21
    .vgpr_spill_count: 0
    .wavefront_size: 32
    .workgroup_processor_mode: 1
  - .args:
      - .offset:         0
        .size:           56
        .value_kind:     by_value
      - .offset:         56
        .size:           4
        .value_kind:     hidden_block_count_x
      - .offset:         60
        .size:           4
        .value_kind:     hidden_block_count_y
      - .offset:         64
        .size:           4
        .value_kind:     hidden_block_count_z
      - .offset:         68
        .size:           2
        .value_kind:     hidden_group_size_x
      - .offset:         70
        .size:           2
        .value_kind:     hidden_group_size_y
      - .offset:         72
        .size:           2
        .value_kind:     hidden_group_size_z
      - .offset:         74
        .size:           2
        .value_kind:     hidden_remainder_x
      - .offset:         76
        .size:           2
        .value_kind:     hidden_remainder_y
      - .offset:         78
        .size:           2
        .value_kind:     hidden_remainder_z
      - .offset:         96
        .size:           8
        .value_kind:     hidden_global_offset_x
      - .offset:         104
        .size:           8
        .value_kind:     hidden_global_offset_y
      - .offset:         112
        .size:           8
        .value_kind:     hidden_global_offset_z
      - .offset:         120
        .size:           2
        .value_kind:     hidden_grid_dims
    .group_segment_fixed_size: 0
    .kernarg_segment_align: 8
    .kernarg_segment_size: 312
    .language:       OpenCL C
    .language_version:
      - 2
      - 0
    .max_flat_workgroup_size: 8
    .name:           _Z30fast_hadamard_transform_kernelI37fast_hadamard_transform_kernel_traitsILi8ELi6EfEEv18HadamardParamsBase
    .private_segment_fixed_size: 0
    .sgpr_count:     16
    .sgpr_spill_count: 0
    .symbol:         _Z30fast_hadamard_transform_kernelI37fast_hadamard_transform_kernel_traitsILi8ELi6EfEEv18HadamardParamsBase.kd
    .uniform_work_group_size: 1
    .uses_dynamic_stack: false
    .vgpr_count:     23
    .vgpr_spill_count: 0
    .wavefront_size: 32
    .workgroup_processor_mode: 1
  - .args:
      - .offset:         0
        .size:           56
        .value_kind:     by_value
      - .offset:         56
        .size:           4
        .value_kind:     hidden_block_count_x
      - .offset:         60
        .size:           4
        .value_kind:     hidden_block_count_y
      - .offset:         64
        .size:           4
        .value_kind:     hidden_block_count_z
      - .offset:         68
        .size:           2
        .value_kind:     hidden_group_size_x
      - .offset:         70
        .size:           2
        .value_kind:     hidden_group_size_y
      - .offset:         72
        .size:           2
        .value_kind:     hidden_group_size_z
      - .offset:         74
        .size:           2
        .value_kind:     hidden_remainder_x
      - .offset:         76
        .size:           2
        .value_kind:     hidden_remainder_y
      - .offset:         78
        .size:           2
        .value_kind:     hidden_remainder_z
      - .offset:         96
        .size:           8
        .value_kind:     hidden_global_offset_x
      - .offset:         104
        .size:           8
        .value_kind:     hidden_global_offset_y
      - .offset:         112
        .size:           8
        .value_kind:     hidden_global_offset_z
      - .offset:         120
        .size:           2
        .value_kind:     hidden_grid_dims
    .group_segment_fixed_size: 0
    .kernarg_segment_align: 8
    .kernarg_segment_size: 312
    .language:       OpenCL C
    .language_version:
      - 2
      - 0
    .max_flat_workgroup_size: 16
    .name:           _Z30fast_hadamard_transform_kernelI37fast_hadamard_transform_kernel_traitsILi16ELi7EfEEv18HadamardParamsBase
    .private_segment_fixed_size: 0
    .sgpr_count:     16
    .sgpr_spill_count: 0
    .symbol:         _Z30fast_hadamard_transform_kernelI37fast_hadamard_transform_kernel_traitsILi16ELi7EfEEv18HadamardParamsBase.kd
    .uniform_work_group_size: 1
    .uses_dynamic_stack: false
    .vgpr_count:     24
    .vgpr_spill_count: 0
    .wavefront_size: 32
    .workgroup_processor_mode: 1
  - .args:
      - .offset:         0
        .size:           56
        .value_kind:     by_value
      - .offset:         56
        .size:           4
        .value_kind:     hidden_block_count_x
      - .offset:         60
        .size:           4
        .value_kind:     hidden_block_count_y
      - .offset:         64
        .size:           4
        .value_kind:     hidden_block_count_z
      - .offset:         68
        .size:           2
        .value_kind:     hidden_group_size_x
      - .offset:         70
        .size:           2
        .value_kind:     hidden_group_size_y
      - .offset:         72
        .size:           2
        .value_kind:     hidden_group_size_z
      - .offset:         74
        .size:           2
        .value_kind:     hidden_remainder_x
      - .offset:         76
        .size:           2
        .value_kind:     hidden_remainder_y
      - .offset:         78
        .size:           2
        .value_kind:     hidden_remainder_z
      - .offset:         96
        .size:           8
        .value_kind:     hidden_global_offset_x
      - .offset:         104
        .size:           8
        .value_kind:     hidden_global_offset_y
      - .offset:         112
        .size:           8
        .value_kind:     hidden_global_offset_z
      - .offset:         120
        .size:           2
        .value_kind:     hidden_grid_dims
    .group_segment_fixed_size: 0
    .kernarg_segment_align: 8
    .kernarg_segment_size: 312
    .language:       OpenCL C
    .language_version:
      - 2
      - 0
    .max_flat_workgroup_size: 32
    .name:           _Z30fast_hadamard_transform_kernelI37fast_hadamard_transform_kernel_traitsILi32ELi8EfEEv18HadamardParamsBase
    .private_segment_fixed_size: 0
    .sgpr_count:     16
    .sgpr_spill_count: 0
    .symbol:         _Z30fast_hadamard_transform_kernelI37fast_hadamard_transform_kernel_traitsILi32ELi8EfEEv18HadamardParamsBase.kd
    .uniform_work_group_size: 1
    .uses_dynamic_stack: false
    .vgpr_count:     23
    .vgpr_spill_count: 0
    .wavefront_size: 32
    .workgroup_processor_mode: 1
  - .args:
      - .offset:         0
        .size:           56
        .value_kind:     by_value
      - .offset:         56
        .size:           4
        .value_kind:     hidden_block_count_x
      - .offset:         60
        .size:           4
        .value_kind:     hidden_block_count_y
      - .offset:         64
        .size:           4
        .value_kind:     hidden_block_count_z
      - .offset:         68
        .size:           2
        .value_kind:     hidden_group_size_x
      - .offset:         70
        .size:           2
        .value_kind:     hidden_group_size_y
      - .offset:         72
        .size:           2
        .value_kind:     hidden_group_size_z
      - .offset:         74
        .size:           2
        .value_kind:     hidden_remainder_x
      - .offset:         76
        .size:           2
        .value_kind:     hidden_remainder_y
      - .offset:         78
        .size:           2
        .value_kind:     hidden_remainder_z
      - .offset:         96
        .size:           8
        .value_kind:     hidden_global_offset_x
      - .offset:         104
        .size:           8
        .value_kind:     hidden_global_offset_y
      - .offset:         112
        .size:           8
        .value_kind:     hidden_global_offset_z
      - .offset:         120
        .size:           2
        .value_kind:     hidden_grid_dims
    .group_segment_fixed_size: 0
    .kernarg_segment_align: 8
    .kernarg_segment_size: 312
    .language:       OpenCL C
    .language_version:
      - 2
      - 0
    .max_flat_workgroup_size: 32
    .name:           _Z30fast_hadamard_transform_kernelI37fast_hadamard_transform_kernel_traitsILi32ELi9EfEEv18HadamardParamsBase
    .private_segment_fixed_size: 0
    .sgpr_count:     17
    .sgpr_spill_count: 0
    .symbol:         _Z30fast_hadamard_transform_kernelI37fast_hadamard_transform_kernel_traitsILi32ELi9EfEEv18HadamardParamsBase.kd
    .uniform_work_group_size: 1
    .uses_dynamic_stack: false
    .vgpr_count:     34
    .vgpr_spill_count: 0
    .wavefront_size: 32
    .workgroup_processor_mode: 1
  - .args:
      - .offset:         0
        .size:           56
        .value_kind:     by_value
      - .offset:         56
        .size:           4
        .value_kind:     hidden_block_count_x
      - .offset:         60
        .size:           4
        .value_kind:     hidden_block_count_y
      - .offset:         64
        .size:           4
        .value_kind:     hidden_block_count_z
      - .offset:         68
        .size:           2
        .value_kind:     hidden_group_size_x
      - .offset:         70
        .size:           2
        .value_kind:     hidden_group_size_y
      - .offset:         72
        .size:           2
        .value_kind:     hidden_group_size_z
      - .offset:         74
        .size:           2
        .value_kind:     hidden_remainder_x
      - .offset:         76
        .size:           2
        .value_kind:     hidden_remainder_y
      - .offset:         78
        .size:           2
        .value_kind:     hidden_remainder_z
      - .offset:         96
        .size:           8
        .value_kind:     hidden_global_offset_x
      - .offset:         104
        .size:           8
        .value_kind:     hidden_global_offset_y
      - .offset:         112
        .size:           8
        .value_kind:     hidden_global_offset_z
      - .offset:         120
        .size:           2
        .value_kind:     hidden_grid_dims
      - .offset:         176
        .size:           4
        .value_kind:     hidden_dynamic_lds_size
    .group_segment_fixed_size: 0
    .kernarg_segment_align: 8
    .kernarg_segment_size: 312
    .language:       OpenCL C
    .language_version:
      - 2
      - 0
    .max_flat_workgroup_size: 128
    .name:           _Z30fast_hadamard_transform_kernelI37fast_hadamard_transform_kernel_traitsILi128ELi10EfEEv18HadamardParamsBase
    .private_segment_fixed_size: 0
    .sgpr_count:     20
    .sgpr_spill_count: 0
    .symbol:         _Z30fast_hadamard_transform_kernelI37fast_hadamard_transform_kernel_traitsILi128ELi10EfEEv18HadamardParamsBase.kd
    .uniform_work_group_size: 1
    .uses_dynamic_stack: false
    .vgpr_count:     24
    .vgpr_spill_count: 0
    .wavefront_size: 32
    .workgroup_processor_mode: 1
  - .args:
      - .offset:         0
        .size:           56
        .value_kind:     by_value
      - .offset:         56
        .size:           4
        .value_kind:     hidden_block_count_x
      - .offset:         60
        .size:           4
        .value_kind:     hidden_block_count_y
      - .offset:         64
        .size:           4
        .value_kind:     hidden_block_count_z
      - .offset:         68
        .size:           2
        .value_kind:     hidden_group_size_x
      - .offset:         70
        .size:           2
        .value_kind:     hidden_group_size_y
      - .offset:         72
        .size:           2
        .value_kind:     hidden_group_size_z
      - .offset:         74
        .size:           2
        .value_kind:     hidden_remainder_x
      - .offset:         76
        .size:           2
        .value_kind:     hidden_remainder_y
      - .offset:         78
        .size:           2
        .value_kind:     hidden_remainder_z
      - .offset:         96
        .size:           8
        .value_kind:     hidden_global_offset_x
      - .offset:         104
        .size:           8
        .value_kind:     hidden_global_offset_y
      - .offset:         112
        .size:           8
        .value_kind:     hidden_global_offset_z
      - .offset:         120
        .size:           2
        .value_kind:     hidden_grid_dims
      - .offset:         176
        .size:           4
        .value_kind:     hidden_dynamic_lds_size
    .group_segment_fixed_size: 0
    .kernarg_segment_align: 8
    .kernarg_segment_size: 312
    .language:       OpenCL C
    .language_version:
      - 2
      - 0
    .max_flat_workgroup_size: 256
    .name:           _Z30fast_hadamard_transform_kernelI37fast_hadamard_transform_kernel_traitsILi256ELi11EfEEv18HadamardParamsBase
    .private_segment_fixed_size: 0
    .sgpr_count:     20
    .sgpr_spill_count: 0
    .symbol:         _Z30fast_hadamard_transform_kernelI37fast_hadamard_transform_kernel_traitsILi256ELi11EfEEv18HadamardParamsBase.kd
    .uniform_work_group_size: 1
    .uses_dynamic_stack: false
    .vgpr_count:     24
    .vgpr_spill_count: 0
    .wavefront_size: 32
    .workgroup_processor_mode: 1
  - .args:
      - .offset:         0
        .size:           56
        .value_kind:     by_value
      - .offset:         56
        .size:           4
        .value_kind:     hidden_block_count_x
      - .offset:         60
        .size:           4
        .value_kind:     hidden_block_count_y
      - .offset:         64
        .size:           4
        .value_kind:     hidden_block_count_z
      - .offset:         68
        .size:           2
        .value_kind:     hidden_group_size_x
      - .offset:         70
        .size:           2
        .value_kind:     hidden_group_size_y
      - .offset:         72
        .size:           2
        .value_kind:     hidden_group_size_z
      - .offset:         74
        .size:           2
        .value_kind:     hidden_remainder_x
      - .offset:         76
        .size:           2
        .value_kind:     hidden_remainder_y
      - .offset:         78
        .size:           2
        .value_kind:     hidden_remainder_z
      - .offset:         96
        .size:           8
        .value_kind:     hidden_global_offset_x
      - .offset:         104
        .size:           8
        .value_kind:     hidden_global_offset_y
      - .offset:         112
        .size:           8
        .value_kind:     hidden_global_offset_z
      - .offset:         120
        .size:           2
        .value_kind:     hidden_grid_dims
      - .offset:         176
        .size:           4
        .value_kind:     hidden_dynamic_lds_size
    .group_segment_fixed_size: 0
    .kernarg_segment_align: 8
    .kernarg_segment_size: 312
    .language:       OpenCL C
    .language_version:
      - 2
      - 0
    .max_flat_workgroup_size: 256
    .name:           _Z30fast_hadamard_transform_kernelI37fast_hadamard_transform_kernel_traitsILi256ELi12EfEEv18HadamardParamsBase
    .private_segment_fixed_size: 0
    .sgpr_count:     20
    .sgpr_spill_count: 0
    .symbol:         _Z30fast_hadamard_transform_kernelI37fast_hadamard_transform_kernel_traitsILi256ELi12EfEEv18HadamardParamsBase.kd
    .uniform_work_group_size: 1
    .uses_dynamic_stack: false
    .vgpr_count:     36
    .vgpr_spill_count: 0
    .wavefront_size: 32
    .workgroup_processor_mode: 1
  - .args:
      - .offset:         0
        .size:           56
        .value_kind:     by_value
      - .offset:         56
        .size:           4
        .value_kind:     hidden_block_count_x
      - .offset:         60
        .size:           4
        .value_kind:     hidden_block_count_y
      - .offset:         64
        .size:           4
        .value_kind:     hidden_block_count_z
      - .offset:         68
        .size:           2
        .value_kind:     hidden_group_size_x
      - .offset:         70
        .size:           2
        .value_kind:     hidden_group_size_y
      - .offset:         72
        .size:           2
        .value_kind:     hidden_group_size_z
      - .offset:         74
        .size:           2
        .value_kind:     hidden_remainder_x
      - .offset:         76
        .size:           2
        .value_kind:     hidden_remainder_y
      - .offset:         78
        .size:           2
        .value_kind:     hidden_remainder_z
      - .offset:         96
        .size:           8
        .value_kind:     hidden_global_offset_x
      - .offset:         104
        .size:           8
        .value_kind:     hidden_global_offset_y
      - .offset:         112
        .size:           8
        .value_kind:     hidden_global_offset_z
      - .offset:         120
        .size:           2
        .value_kind:     hidden_grid_dims
      - .offset:         176
        .size:           4
        .value_kind:     hidden_dynamic_lds_size
    .group_segment_fixed_size: 0
    .kernarg_segment_align: 8
    .kernarg_segment_size: 312
    .language:       OpenCL C
    .language_version:
      - 2
      - 0
    .max_flat_workgroup_size: 256
    .name:           _Z30fast_hadamard_transform_kernelI37fast_hadamard_transform_kernel_traitsILi256ELi13EfEEv18HadamardParamsBase
    .private_segment_fixed_size: 0
    .sgpr_count:     24
    .sgpr_spill_count: 0
    .symbol:         _Z30fast_hadamard_transform_kernelI37fast_hadamard_transform_kernel_traitsILi256ELi13EfEEv18HadamardParamsBase.kd
    .uniform_work_group_size: 1
    .uses_dynamic_stack: false
    .vgpr_count:     70
    .vgpr_spill_count: 0
    .wavefront_size: 32
    .workgroup_processor_mode: 1
  - .args:
      - .offset:         0
        .size:           56
        .value_kind:     by_value
      - .offset:         56
        .size:           4
        .value_kind:     hidden_block_count_x
      - .offset:         60
        .size:           4
        .value_kind:     hidden_block_count_y
      - .offset:         64
        .size:           4
        .value_kind:     hidden_block_count_z
      - .offset:         68
        .size:           2
        .value_kind:     hidden_group_size_x
      - .offset:         70
        .size:           2
        .value_kind:     hidden_group_size_y
      - .offset:         72
        .size:           2
        .value_kind:     hidden_group_size_z
      - .offset:         74
        .size:           2
        .value_kind:     hidden_remainder_x
      - .offset:         76
        .size:           2
        .value_kind:     hidden_remainder_y
      - .offset:         78
        .size:           2
        .value_kind:     hidden_remainder_z
      - .offset:         96
        .size:           8
        .value_kind:     hidden_global_offset_x
      - .offset:         104
        .size:           8
        .value_kind:     hidden_global_offset_y
      - .offset:         112
        .size:           8
        .value_kind:     hidden_global_offset_z
      - .offset:         120
        .size:           2
        .value_kind:     hidden_grid_dims
      - .offset:         176
        .size:           4
        .value_kind:     hidden_dynamic_lds_size
    .group_segment_fixed_size: 0
    .kernarg_segment_align: 8
    .kernarg_segment_size: 312
    .language:       OpenCL C
    .language_version:
      - 2
      - 0
    .max_flat_workgroup_size: 256
    .name:           _Z30fast_hadamard_transform_kernelI37fast_hadamard_transform_kernel_traitsILi256ELi14EfEEv18HadamardParamsBase
    .private_segment_fixed_size: 0
    .sgpr_count:     32
    .sgpr_spill_count: 0
    .symbol:         _Z30fast_hadamard_transform_kernelI37fast_hadamard_transform_kernel_traitsILi256ELi14EfEEv18HadamardParamsBase.kd
    .uniform_work_group_size: 1
    .uses_dynamic_stack: false
    .vgpr_count:     152
    .vgpr_spill_count: 0
    .wavefront_size: 32
    .workgroup_processor_mode: 1
  - .args:
      - .offset:         0
        .size:           56
        .value_kind:     by_value
      - .offset:         56
        .size:           4
        .value_kind:     hidden_block_count_x
      - .offset:         60
        .size:           4
        .value_kind:     hidden_block_count_y
      - .offset:         64
        .size:           4
        .value_kind:     hidden_block_count_z
      - .offset:         68
        .size:           2
        .value_kind:     hidden_group_size_x
      - .offset:         70
        .size:           2
        .value_kind:     hidden_group_size_y
      - .offset:         72
        .size:           2
        .value_kind:     hidden_group_size_z
      - .offset:         74
        .size:           2
        .value_kind:     hidden_remainder_x
      - .offset:         76
        .size:           2
        .value_kind:     hidden_remainder_y
      - .offset:         78
        .size:           2
        .value_kind:     hidden_remainder_z
      - .offset:         96
        .size:           8
        .value_kind:     hidden_global_offset_x
      - .offset:         104
        .size:           8
        .value_kind:     hidden_global_offset_y
      - .offset:         112
        .size:           8
        .value_kind:     hidden_global_offset_z
      - .offset:         120
        .size:           2
        .value_kind:     hidden_grid_dims
      - .offset:         176
        .size:           4
        .value_kind:     hidden_dynamic_lds_size
    .group_segment_fixed_size: 0
    .kernarg_segment_align: 8
    .kernarg_segment_size: 312
    .language:       OpenCL C
    .language_version:
      - 2
      - 0
    .max_flat_workgroup_size: 256
    .name:           _Z30fast_hadamard_transform_kernelI37fast_hadamard_transform_kernel_traitsILi256ELi15EfEEv18HadamardParamsBase
    .private_segment_fixed_size: 284
    .sgpr_count:     52
    .sgpr_spill_count: 0
    .symbol:         _Z30fast_hadamard_transform_kernelI37fast_hadamard_transform_kernel_traitsILi256ELi15EfEEv18HadamardParamsBase.kd
    .uniform_work_group_size: 1
    .uses_dynamic_stack: false
    .vgpr_count:     256
    .vgpr_spill_count: 72
    .wavefront_size: 32
    .workgroup_processor_mode: 1
  - .args:
      - .offset:         0
        .size:           56
        .value_kind:     by_value
    .group_segment_fixed_size: 0
    .kernarg_segment_align: 8
    .kernarg_segment_size: 56
    .language:       OpenCL C
    .language_version:
      - 2
      - 0
    .max_flat_workgroup_size: 1
    .name:           _Z30fast_hadamard_transform_kernelI37fast_hadamard_transform_kernel_traitsILi1ELi3E6__halfEEv18HadamardParamsBase
    .private_segment_fixed_size: 0
    .sgpr_count:     17
    .sgpr_spill_count: 0
    .symbol:         _Z30fast_hadamard_transform_kernelI37fast_hadamard_transform_kernel_traitsILi1ELi3E6__halfEEv18HadamardParamsBase.kd
    .uniform_work_group_size: 1
    .uses_dynamic_stack: false
    .vgpr_count:     5
    .vgpr_spill_count: 0
    .wavefront_size: 32
    .workgroup_processor_mode: 1
  - .args:
      - .offset:         0
        .size:           56
        .value_kind:     by_value
    .group_segment_fixed_size: 0
    .kernarg_segment_align: 8
    .kernarg_segment_size: 56
    .language:       OpenCL C
    .language_version:
      - 2
      - 0
    .max_flat_workgroup_size: 2
    .name:           _Z30fast_hadamard_transform_kernelI37fast_hadamard_transform_kernel_traitsILi2ELi4E6__halfEEv18HadamardParamsBase
    .private_segment_fixed_size: 0
    .sgpr_count:     13
    .sgpr_spill_count: 0
    .symbol:         _Z30fast_hadamard_transform_kernelI37fast_hadamard_transform_kernel_traitsILi2ELi4E6__halfEEv18HadamardParamsBase.kd
    .uniform_work_group_size: 1
    .uses_dynamic_stack: false
    .vgpr_count:     18
    .vgpr_spill_count: 0
    .wavefront_size: 32
    .workgroup_processor_mode: 1
  - .args:
      - .offset:         0
        .size:           56
        .value_kind:     by_value
    .group_segment_fixed_size: 0
    .kernarg_segment_align: 8
    .kernarg_segment_size: 56
    .language:       OpenCL C
    .language_version:
      - 2
      - 0
    .max_flat_workgroup_size: 4
    .name:           _Z30fast_hadamard_transform_kernelI37fast_hadamard_transform_kernel_traitsILi4ELi5E6__halfEEv18HadamardParamsBase
    .private_segment_fixed_size: 0
    .sgpr_count:     13
    .sgpr_spill_count: 0
    .symbol:         _Z30fast_hadamard_transform_kernelI37fast_hadamard_transform_kernel_traitsILi4ELi5E6__halfEEv18HadamardParamsBase.kd
    .uniform_work_group_size: 1
    .uses_dynamic_stack: false
    .vgpr_count:     22
    .vgpr_spill_count: 0
    .wavefront_size: 32
    .workgroup_processor_mode: 1
  - .args:
      - .offset:         0
        .size:           56
        .value_kind:     by_value
    .group_segment_fixed_size: 0
    .kernarg_segment_align: 8
    .kernarg_segment_size: 56
    .language:       OpenCL C
    .language_version:
      - 2
      - 0
    .max_flat_workgroup_size: 8
    .name:           _Z30fast_hadamard_transform_kernelI37fast_hadamard_transform_kernel_traitsILi8ELi6E6__halfEEv18HadamardParamsBase
    .private_segment_fixed_size: 0
    .sgpr_count:     13
    .sgpr_spill_count: 0
    .symbol:         _Z30fast_hadamard_transform_kernelI37fast_hadamard_transform_kernel_traitsILi8ELi6E6__halfEEv18HadamardParamsBase.kd
    .uniform_work_group_size: 1
    .uses_dynamic_stack: false
    .vgpr_count:     23
    .vgpr_spill_count: 0
    .wavefront_size: 32
    .workgroup_processor_mode: 1
  - .args:
      - .offset:         0
        .size:           56
        .value_kind:     by_value
    .group_segment_fixed_size: 0
    .kernarg_segment_align: 8
    .kernarg_segment_size: 56
    .language:       OpenCL C
    .language_version:
      - 2
      - 0
    .max_flat_workgroup_size: 16
    .name:           _Z30fast_hadamard_transform_kernelI37fast_hadamard_transform_kernel_traitsILi16ELi7E6__halfEEv18HadamardParamsBase
    .private_segment_fixed_size: 0
    .sgpr_count:     13
    .sgpr_spill_count: 0
    .symbol:         _Z30fast_hadamard_transform_kernelI37fast_hadamard_transform_kernel_traitsILi16ELi7E6__halfEEv18HadamardParamsBase.kd
    .uniform_work_group_size: 1
    .uses_dynamic_stack: false
    .vgpr_count:     22
    .vgpr_spill_count: 0
    .wavefront_size: 32
    .workgroup_processor_mode: 1
  - .args:
      - .offset:         0
        .size:           56
        .value_kind:     by_value
    .group_segment_fixed_size: 0
    .kernarg_segment_align: 8
    .kernarg_segment_size: 56
    .language:       OpenCL C
    .language_version:
      - 2
      - 0
    .max_flat_workgroup_size: 32
    .name:           _Z30fast_hadamard_transform_kernelI37fast_hadamard_transform_kernel_traitsILi32ELi8E6__halfEEv18HadamardParamsBase
    .private_segment_fixed_size: 0
    .sgpr_count:     13
    .sgpr_spill_count: 0
    .symbol:         _Z30fast_hadamard_transform_kernelI37fast_hadamard_transform_kernel_traitsILi32ELi8E6__halfEEv18HadamardParamsBase.kd
    .uniform_work_group_size: 1
    .uses_dynamic_stack: false
    .vgpr_count:     21
    .vgpr_spill_count: 0
    .wavefront_size: 32
    .workgroup_processor_mode: 1
  - .args:
      - .offset:         0
        .size:           56
        .value_kind:     by_value
      - .offset:         56
        .size:           4
        .value_kind:     hidden_block_count_x
      - .offset:         60
        .size:           4
        .value_kind:     hidden_block_count_y
      - .offset:         64
        .size:           4
        .value_kind:     hidden_block_count_z
      - .offset:         68
        .size:           2
        .value_kind:     hidden_group_size_x
      - .offset:         70
        .size:           2
        .value_kind:     hidden_group_size_y
      - .offset:         72
        .size:           2
        .value_kind:     hidden_group_size_z
      - .offset:         74
        .size:           2
        .value_kind:     hidden_remainder_x
      - .offset:         76
        .size:           2
        .value_kind:     hidden_remainder_y
      - .offset:         78
        .size:           2
        .value_kind:     hidden_remainder_z
      - .offset:         96
        .size:           8
        .value_kind:     hidden_global_offset_x
      - .offset:         104
        .size:           8
        .value_kind:     hidden_global_offset_y
      - .offset:         112
        .size:           8
        .value_kind:     hidden_global_offset_z
      - .offset:         120
        .size:           2
        .value_kind:     hidden_grid_dims
    .group_segment_fixed_size: 0
    .kernarg_segment_align: 8
    .kernarg_segment_size: 312
    .language:       OpenCL C
    .language_version:
      - 2
      - 0
    .max_flat_workgroup_size: 32
    .name:           _Z30fast_hadamard_transform_kernelI37fast_hadamard_transform_kernel_traitsILi32ELi9E6__halfEEv18HadamardParamsBase
    .private_segment_fixed_size: 0
    .sgpr_count:     16
    .sgpr_spill_count: 0
    .symbol:         _Z30fast_hadamard_transform_kernelI37fast_hadamard_transform_kernel_traitsILi32ELi9E6__halfEEv18HadamardParamsBase.kd
    .uniform_work_group_size: 1
    .uses_dynamic_stack: false
    .vgpr_count:     39
    .vgpr_spill_count: 0
    .wavefront_size: 32
    .workgroup_processor_mode: 1
  - .args:
      - .offset:         0
        .size:           56
        .value_kind:     by_value
    .group_segment_fixed_size: 0
    .kernarg_segment_align: 8
    .kernarg_segment_size: 56
    .language:       OpenCL C
    .language_version:
      - 2
      - 0
    .max_flat_workgroup_size: 128
    .name:           _Z30fast_hadamard_transform_kernelI37fast_hadamard_transform_kernel_traitsILi128ELi10E6__halfEEv18HadamardParamsBase
    .private_segment_fixed_size: 0
    .sgpr_count:     13
    .sgpr_spill_count: 0
    .symbol:         _Z30fast_hadamard_transform_kernelI37fast_hadamard_transform_kernel_traitsILi128ELi10E6__halfEEv18HadamardParamsBase.kd
    .uniform_work_group_size: 1
    .uses_dynamic_stack: false
    .vgpr_count:     23
    .vgpr_spill_count: 0
    .wavefront_size: 32
    .workgroup_processor_mode: 1
  - .args:
      - .offset:         0
        .size:           56
        .value_kind:     by_value
    .group_segment_fixed_size: 0
    .kernarg_segment_align: 8
    .kernarg_segment_size: 56
    .language:       OpenCL C
    .language_version:
      - 2
      - 0
    .max_flat_workgroup_size: 256
    .name:           _Z30fast_hadamard_transform_kernelI37fast_hadamard_transform_kernel_traitsILi256ELi11E6__halfEEv18HadamardParamsBase
    .private_segment_fixed_size: 0
    .sgpr_count:     12
    .sgpr_spill_count: 0
    .symbol:         _Z30fast_hadamard_transform_kernelI37fast_hadamard_transform_kernel_traitsILi256ELi11E6__halfEEv18HadamardParamsBase.kd
    .uniform_work_group_size: 1
    .uses_dynamic_stack: false
    .vgpr_count:     24
    .vgpr_spill_count: 0
    .wavefront_size: 32
    .workgroup_processor_mode: 1
  - .args:
      - .offset:         0
        .size:           56
        .value_kind:     by_value
      - .offset:         56
        .size:           4
        .value_kind:     hidden_block_count_x
      - .offset:         60
        .size:           4
        .value_kind:     hidden_block_count_y
      - .offset:         64
        .size:           4
        .value_kind:     hidden_block_count_z
      - .offset:         68
        .size:           2
        .value_kind:     hidden_group_size_x
      - .offset:         70
        .size:           2
        .value_kind:     hidden_group_size_y
      - .offset:         72
        .size:           2
        .value_kind:     hidden_group_size_z
      - .offset:         74
        .size:           2
        .value_kind:     hidden_remainder_x
      - .offset:         76
        .size:           2
        .value_kind:     hidden_remainder_y
      - .offset:         78
        .size:           2
        .value_kind:     hidden_remainder_z
      - .offset:         96
        .size:           8
        .value_kind:     hidden_global_offset_x
      - .offset:         104
        .size:           8
        .value_kind:     hidden_global_offset_y
      - .offset:         112
        .size:           8
        .value_kind:     hidden_global_offset_z
      - .offset:         120
        .size:           2
        .value_kind:     hidden_grid_dims
      - .offset:         176
        .size:           4
        .value_kind:     hidden_dynamic_lds_size
    .group_segment_fixed_size: 0
    .kernarg_segment_align: 8
    .kernarg_segment_size: 312
    .language:       OpenCL C
    .language_version:
      - 2
      - 0
    .max_flat_workgroup_size: 256
    .name:           _Z30fast_hadamard_transform_kernelI37fast_hadamard_transform_kernel_traitsILi256ELi12E6__halfEEv18HadamardParamsBase
    .private_segment_fixed_size: 0
    .sgpr_count:     20
    .sgpr_spill_count: 0
    .symbol:         _Z30fast_hadamard_transform_kernelI37fast_hadamard_transform_kernel_traitsILi256ELi12E6__halfEEv18HadamardParamsBase.kd
    .uniform_work_group_size: 1
    .uses_dynamic_stack: false
    .vgpr_count:     34
    .vgpr_spill_count: 0
    .wavefront_size: 32
    .workgroup_processor_mode: 1
  - .args:
      - .offset:         0
        .size:           56
        .value_kind:     by_value
      - .offset:         56
        .size:           4
        .value_kind:     hidden_block_count_x
      - .offset:         60
        .size:           4
        .value_kind:     hidden_block_count_y
      - .offset:         64
        .size:           4
        .value_kind:     hidden_block_count_z
      - .offset:         68
        .size:           2
        .value_kind:     hidden_group_size_x
      - .offset:         70
        .size:           2
        .value_kind:     hidden_group_size_y
      - .offset:         72
        .size:           2
        .value_kind:     hidden_group_size_z
      - .offset:         74
        .size:           2
        .value_kind:     hidden_remainder_x
      - .offset:         76
        .size:           2
        .value_kind:     hidden_remainder_y
      - .offset:         78
        .size:           2
        .value_kind:     hidden_remainder_z
      - .offset:         96
        .size:           8
        .value_kind:     hidden_global_offset_x
      - .offset:         104
        .size:           8
        .value_kind:     hidden_global_offset_y
      - .offset:         112
        .size:           8
        .value_kind:     hidden_global_offset_z
      - .offset:         120
        .size:           2
        .value_kind:     hidden_grid_dims
      - .offset:         176
        .size:           4
        .value_kind:     hidden_dynamic_lds_size
    .group_segment_fixed_size: 0
    .kernarg_segment_align: 8
    .kernarg_segment_size: 312
    .language:       OpenCL C
    .language_version:
      - 2
      - 0
    .max_flat_workgroup_size: 256
    .name:           _Z30fast_hadamard_transform_kernelI37fast_hadamard_transform_kernel_traitsILi256ELi13E6__halfEEv18HadamardParamsBase
    .private_segment_fixed_size: 0
    .sgpr_count:     20
    .sgpr_spill_count: 0
    .symbol:         _Z30fast_hadamard_transform_kernelI37fast_hadamard_transform_kernel_traitsILi256ELi13E6__halfEEv18HadamardParamsBase.kd
    .uniform_work_group_size: 1
    .uses_dynamic_stack: false
    .vgpr_count:     62
    .vgpr_spill_count: 0
    .wavefront_size: 32
    .workgroup_processor_mode: 1
  - .args:
      - .offset:         0
        .size:           56
        .value_kind:     by_value
      - .offset:         56
        .size:           4
        .value_kind:     hidden_block_count_x
      - .offset:         60
        .size:           4
        .value_kind:     hidden_block_count_y
      - .offset:         64
        .size:           4
        .value_kind:     hidden_block_count_z
      - .offset:         68
        .size:           2
        .value_kind:     hidden_group_size_x
      - .offset:         70
        .size:           2
        .value_kind:     hidden_group_size_y
      - .offset:         72
        .size:           2
        .value_kind:     hidden_group_size_z
      - .offset:         74
        .size:           2
        .value_kind:     hidden_remainder_x
      - .offset:         76
        .size:           2
        .value_kind:     hidden_remainder_y
      - .offset:         78
        .size:           2
        .value_kind:     hidden_remainder_z
      - .offset:         96
        .size:           8
        .value_kind:     hidden_global_offset_x
      - .offset:         104
        .size:           8
        .value_kind:     hidden_global_offset_y
      - .offset:         112
        .size:           8
        .value_kind:     hidden_global_offset_z
      - .offset:         120
        .size:           2
        .value_kind:     hidden_grid_dims
      - .offset:         176
        .size:           4
        .value_kind:     hidden_dynamic_lds_size
    .group_segment_fixed_size: 0
    .kernarg_segment_align: 8
    .kernarg_segment_size: 312
    .language:       OpenCL C
    .language_version:
      - 2
      - 0
    .max_flat_workgroup_size: 256
    .name:           _Z30fast_hadamard_transform_kernelI37fast_hadamard_transform_kernel_traitsILi256ELi14E6__halfEEv18HadamardParamsBase
    .private_segment_fixed_size: 0
    .sgpr_count:     24
    .sgpr_spill_count: 0
    .symbol:         _Z30fast_hadamard_transform_kernelI37fast_hadamard_transform_kernel_traitsILi256ELi14E6__halfEEv18HadamardParamsBase.kd
    .uniform_work_group_size: 1
    .uses_dynamic_stack: false
    .vgpr_count:     138
    .vgpr_spill_count: 0
    .wavefront_size: 32
    .workgroup_processor_mode: 1
  - .args:
      - .offset:         0
        .size:           56
        .value_kind:     by_value
      - .offset:         56
        .size:           4
        .value_kind:     hidden_block_count_x
      - .offset:         60
        .size:           4
        .value_kind:     hidden_block_count_y
      - .offset:         64
        .size:           4
        .value_kind:     hidden_block_count_z
      - .offset:         68
        .size:           2
        .value_kind:     hidden_group_size_x
      - .offset:         70
        .size:           2
        .value_kind:     hidden_group_size_y
      - .offset:         72
        .size:           2
        .value_kind:     hidden_group_size_z
      - .offset:         74
        .size:           2
        .value_kind:     hidden_remainder_x
      - .offset:         76
        .size:           2
        .value_kind:     hidden_remainder_y
      - .offset:         78
        .size:           2
        .value_kind:     hidden_remainder_z
      - .offset:         96
        .size:           8
        .value_kind:     hidden_global_offset_x
      - .offset:         104
        .size:           8
        .value_kind:     hidden_global_offset_y
      - .offset:         112
        .size:           8
        .value_kind:     hidden_global_offset_z
      - .offset:         120
        .size:           2
        .value_kind:     hidden_grid_dims
      - .offset:         176
        .size:           4
        .value_kind:     hidden_dynamic_lds_size
    .group_segment_fixed_size: 0
    .kernarg_segment_align: 8
    .kernarg_segment_size: 312
    .language:       OpenCL C
    .language_version:
      - 2
      - 0
    .max_flat_workgroup_size: 256
    .name:           _Z30fast_hadamard_transform_kernelI37fast_hadamard_transform_kernel_traitsILi256ELi15E6__halfEEv18HadamardParamsBase
    .private_segment_fixed_size: 140
    .sgpr_count:     32
    .sgpr_spill_count: 0
    .symbol:         _Z30fast_hadamard_transform_kernelI37fast_hadamard_transform_kernel_traitsILi256ELi15E6__halfEEv18HadamardParamsBase.kd
    .uniform_work_group_size: 1
    .uses_dynamic_stack: false
    .vgpr_count:     256
    .vgpr_spill_count: 36
    .wavefront_size: 32
    .workgroup_processor_mode: 1
  - .args:
      - .offset:         0
        .size:           56
        .value_kind:     by_value
    .group_segment_fixed_size: 0
    .kernarg_segment_align: 8
    .kernarg_segment_size: 56
    .language:       OpenCL C
    .language_version:
      - 2
      - 0
    .max_flat_workgroup_size: 1
    .name:           _Z30fast_hadamard_transform_kernelI37fast_hadamard_transform_kernel_traitsILi1ELi3E14__hip_bfloat16EEv18HadamardParamsBase
    .private_segment_fixed_size: 0
    .sgpr_count:     21
    .sgpr_spill_count: 0
    .symbol:         _Z30fast_hadamard_transform_kernelI37fast_hadamard_transform_kernel_traitsILi1ELi3E14__hip_bfloat16EEv18HadamardParamsBase.kd
    .uniform_work_group_size: 1
    .uses_dynamic_stack: false
    .vgpr_count:     5
    .vgpr_spill_count: 0
    .wavefront_size: 32
    .workgroup_processor_mode: 1
  - .args:
      - .offset:         0
        .size:           56
        .value_kind:     by_value
    .group_segment_fixed_size: 0
    .kernarg_segment_align: 8
    .kernarg_segment_size: 56
    .language:       OpenCL C
    .language_version:
      - 2
      - 0
    .max_flat_workgroup_size: 2
    .name:           _Z30fast_hadamard_transform_kernelI37fast_hadamard_transform_kernel_traitsILi2ELi4E14__hip_bfloat16EEv18HadamardParamsBase
    .private_segment_fixed_size: 0
    .sgpr_count:     12
    .sgpr_spill_count: 0
    .symbol:         _Z30fast_hadamard_transform_kernelI37fast_hadamard_transform_kernel_traitsILi2ELi4E14__hip_bfloat16EEv18HadamardParamsBase.kd
    .uniform_work_group_size: 1
    .uses_dynamic_stack: false
    .vgpr_count:     18
    .vgpr_spill_count: 0
    .wavefront_size: 32
    .workgroup_processor_mode: 1
  - .args:
      - .offset:         0
        .size:           56
        .value_kind:     by_value
    .group_segment_fixed_size: 0
    .kernarg_segment_align: 8
    .kernarg_segment_size: 56
    .language:       OpenCL C
    .language_version:
      - 2
      - 0
    .max_flat_workgroup_size: 4
    .name:           _Z30fast_hadamard_transform_kernelI37fast_hadamard_transform_kernel_traitsILi4ELi5E14__hip_bfloat16EEv18HadamardParamsBase
    .private_segment_fixed_size: 0
    .sgpr_count:     12
    .sgpr_spill_count: 0
    .symbol:         _Z30fast_hadamard_transform_kernelI37fast_hadamard_transform_kernel_traitsILi4ELi5E14__hip_bfloat16EEv18HadamardParamsBase.kd
    .uniform_work_group_size: 1
    .uses_dynamic_stack: false
    .vgpr_count:     22
    .vgpr_spill_count: 0
    .wavefront_size: 32
    .workgroup_processor_mode: 1
  - .args:
      - .offset:         0
        .size:           56
        .value_kind:     by_value
    .group_segment_fixed_size: 0
    .kernarg_segment_align: 8
    .kernarg_segment_size: 56
    .language:       OpenCL C
    .language_version:
      - 2
      - 0
    .max_flat_workgroup_size: 8
    .name:           _Z30fast_hadamard_transform_kernelI37fast_hadamard_transform_kernel_traitsILi8ELi6E14__hip_bfloat16EEv18HadamardParamsBase
    .private_segment_fixed_size: 0
    .sgpr_count:     12
    .sgpr_spill_count: 0
    .symbol:         _Z30fast_hadamard_transform_kernelI37fast_hadamard_transform_kernel_traitsILi8ELi6E14__hip_bfloat16EEv18HadamardParamsBase.kd
    .uniform_work_group_size: 1
    .uses_dynamic_stack: false
    .vgpr_count:     23
    .vgpr_spill_count: 0
    .wavefront_size: 32
    .workgroup_processor_mode: 1
  - .args:
      - .offset:         0
        .size:           56
        .value_kind:     by_value
    .group_segment_fixed_size: 0
    .kernarg_segment_align: 8
    .kernarg_segment_size: 56
    .language:       OpenCL C
    .language_version:
      - 2
      - 0
    .max_flat_workgroup_size: 16
    .name:           _Z30fast_hadamard_transform_kernelI37fast_hadamard_transform_kernel_traitsILi16ELi7E14__hip_bfloat16EEv18HadamardParamsBase
    .private_segment_fixed_size: 0
    .sgpr_count:     12
    .sgpr_spill_count: 0
    .symbol:         _Z30fast_hadamard_transform_kernelI37fast_hadamard_transform_kernel_traitsILi16ELi7E14__hip_bfloat16EEv18HadamardParamsBase.kd
    .uniform_work_group_size: 1
    .uses_dynamic_stack: false
    .vgpr_count:     22
    .vgpr_spill_count: 0
    .wavefront_size: 32
    .workgroup_processor_mode: 1
  - .args:
      - .offset:         0
        .size:           56
        .value_kind:     by_value
    .group_segment_fixed_size: 0
    .kernarg_segment_align: 8
    .kernarg_segment_size: 56
    .language:       OpenCL C
    .language_version:
      - 2
      - 0
    .max_flat_workgroup_size: 32
    .name:           _Z30fast_hadamard_transform_kernelI37fast_hadamard_transform_kernel_traitsILi32ELi8E14__hip_bfloat16EEv18HadamardParamsBase
    .private_segment_fixed_size: 0
    .sgpr_count:     12
    .sgpr_spill_count: 0
    .symbol:         _Z30fast_hadamard_transform_kernelI37fast_hadamard_transform_kernel_traitsILi32ELi8E14__hip_bfloat16EEv18HadamardParamsBase.kd
    .uniform_work_group_size: 1
    .uses_dynamic_stack: false
    .vgpr_count:     22
    .vgpr_spill_count: 0
    .wavefront_size: 32
    .workgroup_processor_mode: 1
  - .args:
      - .offset:         0
        .size:           56
        .value_kind:     by_value
      - .offset:         56
        .size:           4
        .value_kind:     hidden_block_count_x
      - .offset:         60
        .size:           4
        .value_kind:     hidden_block_count_y
      - .offset:         64
        .size:           4
        .value_kind:     hidden_block_count_z
      - .offset:         68
        .size:           2
        .value_kind:     hidden_group_size_x
      - .offset:         70
        .size:           2
        .value_kind:     hidden_group_size_y
      - .offset:         72
        .size:           2
        .value_kind:     hidden_group_size_z
      - .offset:         74
        .size:           2
        .value_kind:     hidden_remainder_x
      - .offset:         76
        .size:           2
        .value_kind:     hidden_remainder_y
      - .offset:         78
        .size:           2
        .value_kind:     hidden_remainder_z
      - .offset:         96
        .size:           8
        .value_kind:     hidden_global_offset_x
      - .offset:         104
        .size:           8
        .value_kind:     hidden_global_offset_y
      - .offset:         112
        .size:           8
        .value_kind:     hidden_global_offset_z
      - .offset:         120
        .size:           2
        .value_kind:     hidden_grid_dims
    .group_segment_fixed_size: 0
    .kernarg_segment_align: 8
    .kernarg_segment_size: 312
    .language:       OpenCL C
    .language_version:
      - 2
      - 0
    .max_flat_workgroup_size: 32
    .name:           _Z30fast_hadamard_transform_kernelI37fast_hadamard_transform_kernel_traitsILi32ELi9E14__hip_bfloat16EEv18HadamardParamsBase
    .private_segment_fixed_size: 0
    .sgpr_count:     17
    .sgpr_spill_count: 0
    .symbol:         _Z30fast_hadamard_transform_kernelI37fast_hadamard_transform_kernel_traitsILi32ELi9E14__hip_bfloat16EEv18HadamardParamsBase.kd
    .uniform_work_group_size: 1
    .uses_dynamic_stack: false
    .vgpr_count:     39
    .vgpr_spill_count: 0
    .wavefront_size: 32
    .workgroup_processor_mode: 1
  - .args:
      - .offset:         0
        .size:           56
        .value_kind:     by_value
    .group_segment_fixed_size: 0
    .kernarg_segment_align: 8
    .kernarg_segment_size: 56
    .language:       OpenCL C
    .language_version:
      - 2
      - 0
    .max_flat_workgroup_size: 128
    .name:           _Z30fast_hadamard_transform_kernelI37fast_hadamard_transform_kernel_traitsILi128ELi10E14__hip_bfloat16EEv18HadamardParamsBase
    .private_segment_fixed_size: 0
    .sgpr_count:     12
    .sgpr_spill_count: 0
    .symbol:         _Z30fast_hadamard_transform_kernelI37fast_hadamard_transform_kernel_traitsILi128ELi10E14__hip_bfloat16EEv18HadamardParamsBase.kd
    .uniform_work_group_size: 1
    .uses_dynamic_stack: false
    .vgpr_count:     23
    .vgpr_spill_count: 0
    .wavefront_size: 32
    .workgroup_processor_mode: 1
  - .args:
      - .offset:         0
        .size:           56
        .value_kind:     by_value
    .group_segment_fixed_size: 0
    .kernarg_segment_align: 8
    .kernarg_segment_size: 56
    .language:       OpenCL C
    .language_version:
      - 2
      - 0
    .max_flat_workgroup_size: 256
    .name:           _Z30fast_hadamard_transform_kernelI37fast_hadamard_transform_kernel_traitsILi256ELi11E14__hip_bfloat16EEv18HadamardParamsBase
    .private_segment_fixed_size: 0
    .sgpr_count:     12
    .sgpr_spill_count: 0
    .symbol:         _Z30fast_hadamard_transform_kernelI37fast_hadamard_transform_kernel_traitsILi256ELi11E14__hip_bfloat16EEv18HadamardParamsBase.kd
    .uniform_work_group_size: 1
    .uses_dynamic_stack: false
    .vgpr_count:     24
    .vgpr_spill_count: 0
    .wavefront_size: 32
    .workgroup_processor_mode: 1
  - .args:
      - .offset:         0
        .size:           56
        .value_kind:     by_value
      - .offset:         56
        .size:           4
        .value_kind:     hidden_block_count_x
      - .offset:         60
        .size:           4
        .value_kind:     hidden_block_count_y
      - .offset:         64
        .size:           4
        .value_kind:     hidden_block_count_z
      - .offset:         68
        .size:           2
        .value_kind:     hidden_group_size_x
      - .offset:         70
        .size:           2
        .value_kind:     hidden_group_size_y
      - .offset:         72
        .size:           2
        .value_kind:     hidden_group_size_z
      - .offset:         74
        .size:           2
        .value_kind:     hidden_remainder_x
      - .offset:         76
        .size:           2
        .value_kind:     hidden_remainder_y
      - .offset:         78
        .size:           2
        .value_kind:     hidden_remainder_z
      - .offset:         96
        .size:           8
        .value_kind:     hidden_global_offset_x
      - .offset:         104
        .size:           8
        .value_kind:     hidden_global_offset_y
      - .offset:         112
        .size:           8
        .value_kind:     hidden_global_offset_z
      - .offset:         120
        .size:           2
        .value_kind:     hidden_grid_dims
      - .offset:         176
        .size:           4
        .value_kind:     hidden_dynamic_lds_size
    .group_segment_fixed_size: 0
    .kernarg_segment_align: 8
    .kernarg_segment_size: 312
    .language:       OpenCL C
    .language_version:
      - 2
      - 0
    .max_flat_workgroup_size: 256
    .name:           _Z30fast_hadamard_transform_kernelI37fast_hadamard_transform_kernel_traitsILi256ELi12E14__hip_bfloat16EEv18HadamardParamsBase
    .private_segment_fixed_size: 0
    .sgpr_count:     20
    .sgpr_spill_count: 0
    .symbol:         _Z30fast_hadamard_transform_kernelI37fast_hadamard_transform_kernel_traitsILi256ELi12E14__hip_bfloat16EEv18HadamardParamsBase.kd
    .uniform_work_group_size: 1
    .uses_dynamic_stack: false
    .vgpr_count:     34
    .vgpr_spill_count: 0
    .wavefront_size: 32
    .workgroup_processor_mode: 1
  - .args:
      - .offset:         0
        .size:           56
        .value_kind:     by_value
      - .offset:         56
        .size:           4
        .value_kind:     hidden_block_count_x
      - .offset:         60
        .size:           4
        .value_kind:     hidden_block_count_y
      - .offset:         64
        .size:           4
        .value_kind:     hidden_block_count_z
      - .offset:         68
        .size:           2
        .value_kind:     hidden_group_size_x
      - .offset:         70
        .size:           2
        .value_kind:     hidden_group_size_y
      - .offset:         72
        .size:           2
        .value_kind:     hidden_group_size_z
      - .offset:         74
        .size:           2
        .value_kind:     hidden_remainder_x
      - .offset:         76
        .size:           2
        .value_kind:     hidden_remainder_y
      - .offset:         78
        .size:           2
        .value_kind:     hidden_remainder_z
      - .offset:         96
        .size:           8
        .value_kind:     hidden_global_offset_x
      - .offset:         104
        .size:           8
        .value_kind:     hidden_global_offset_y
      - .offset:         112
        .size:           8
        .value_kind:     hidden_global_offset_z
      - .offset:         120
        .size:           2
        .value_kind:     hidden_grid_dims
      - .offset:         176
        .size:           4
        .value_kind:     hidden_dynamic_lds_size
    .group_segment_fixed_size: 0
    .kernarg_segment_align: 8
    .kernarg_segment_size: 312
    .language:       OpenCL C
    .language_version:
      - 2
      - 0
    .max_flat_workgroup_size: 256
    .name:           _Z30fast_hadamard_transform_kernelI37fast_hadamard_transform_kernel_traitsILi256ELi13E14__hip_bfloat16EEv18HadamardParamsBase
    .private_segment_fixed_size: 0
    .sgpr_count:     20
    .sgpr_spill_count: 0
    .symbol:         _Z30fast_hadamard_transform_kernelI37fast_hadamard_transform_kernel_traitsILi256ELi13E14__hip_bfloat16EEv18HadamardParamsBase.kd
    .uniform_work_group_size: 1
    .uses_dynamic_stack: false
    .vgpr_count:     66
    .vgpr_spill_count: 0
    .wavefront_size: 32
    .workgroup_processor_mode: 1
  - .args:
      - .offset:         0
        .size:           56
        .value_kind:     by_value
      - .offset:         56
        .size:           4
        .value_kind:     hidden_block_count_x
      - .offset:         60
        .size:           4
        .value_kind:     hidden_block_count_y
      - .offset:         64
        .size:           4
        .value_kind:     hidden_block_count_z
      - .offset:         68
        .size:           2
        .value_kind:     hidden_group_size_x
      - .offset:         70
        .size:           2
        .value_kind:     hidden_group_size_y
      - .offset:         72
        .size:           2
        .value_kind:     hidden_group_size_z
      - .offset:         74
        .size:           2
        .value_kind:     hidden_remainder_x
      - .offset:         76
        .size:           2
        .value_kind:     hidden_remainder_y
      - .offset:         78
        .size:           2
        .value_kind:     hidden_remainder_z
      - .offset:         96
        .size:           8
        .value_kind:     hidden_global_offset_x
      - .offset:         104
        .size:           8
        .value_kind:     hidden_global_offset_y
      - .offset:         112
        .size:           8
        .value_kind:     hidden_global_offset_z
      - .offset:         120
        .size:           2
        .value_kind:     hidden_grid_dims
      - .offset:         176
        .size:           4
        .value_kind:     hidden_dynamic_lds_size
    .group_segment_fixed_size: 0
    .kernarg_segment_align: 8
    .kernarg_segment_size: 312
    .language:       OpenCL C
    .language_version:
      - 2
      - 0
    .max_flat_workgroup_size: 256
    .name:           _Z30fast_hadamard_transform_kernelI37fast_hadamard_transform_kernel_traitsILi256ELi14E14__hip_bfloat16EEv18HadamardParamsBase
    .private_segment_fixed_size: 0
    .sgpr_count:     24
    .sgpr_spill_count: 0
    .symbol:         _Z30fast_hadamard_transform_kernelI37fast_hadamard_transform_kernel_traitsILi256ELi14E14__hip_bfloat16EEv18HadamardParamsBase.kd
    .uniform_work_group_size: 1
    .uses_dynamic_stack: false
    .vgpr_count:     140
    .vgpr_spill_count: 0
    .wavefront_size: 32
    .workgroup_processor_mode: 1
  - .args:
      - .offset:         0
        .size:           56
        .value_kind:     by_value
      - .offset:         56
        .size:           4
        .value_kind:     hidden_block_count_x
      - .offset:         60
        .size:           4
        .value_kind:     hidden_block_count_y
      - .offset:         64
        .size:           4
        .value_kind:     hidden_block_count_z
      - .offset:         68
        .size:           2
        .value_kind:     hidden_group_size_x
      - .offset:         70
        .size:           2
        .value_kind:     hidden_group_size_y
      - .offset:         72
        .size:           2
        .value_kind:     hidden_group_size_z
      - .offset:         74
        .size:           2
        .value_kind:     hidden_remainder_x
      - .offset:         76
        .size:           2
        .value_kind:     hidden_remainder_y
      - .offset:         78
        .size:           2
        .value_kind:     hidden_remainder_z
      - .offset:         96
        .size:           8
        .value_kind:     hidden_global_offset_x
      - .offset:         104
        .size:           8
        .value_kind:     hidden_global_offset_y
      - .offset:         112
        .size:           8
        .value_kind:     hidden_global_offset_z
      - .offset:         120
        .size:           2
        .value_kind:     hidden_grid_dims
      - .offset:         176
        .size:           4
        .value_kind:     hidden_dynamic_lds_size
    .group_segment_fixed_size: 0
    .kernarg_segment_align: 8
    .kernarg_segment_size: 312
    .language:       OpenCL C
    .language_version:
      - 2
      - 0
    .max_flat_workgroup_size: 256
    .name:           _Z30fast_hadamard_transform_kernelI37fast_hadamard_transform_kernel_traitsILi256ELi15E14__hip_bfloat16EEv18HadamardParamsBase
    .private_segment_fixed_size: 144
    .sgpr_count:     32
    .sgpr_spill_count: 0
    .symbol:         _Z30fast_hadamard_transform_kernelI37fast_hadamard_transform_kernel_traitsILi256ELi15E14__hip_bfloat16EEv18HadamardParamsBase.kd
    .uniform_work_group_size: 1
    .uses_dynamic_stack: false
    .vgpr_count:     256
    .vgpr_spill_count: 37
    .wavefront_size: 32
    .workgroup_processor_mode: 1
amdhsa.target:   amdgcn-amd-amdhsa--gfx1201
amdhsa.version:
  - 1
  - 2
...

	.end_amdgpu_metadata
